;; amdgpu-corpus repo=zjin-lcf/HeCBench kind=compiled arch=gfx90a opt=O3
	.text
	.amdgcn_target "amdgcn-amd-amdhsa--gfx90a"
	.amdhsa_code_object_version 6
	.protected	_Z19selective_scan_basePKfS0_S0_S0_S0_S0_S0_S0_biiiiPfS1_ ; -- Begin function _Z19selective_scan_basePKfS0_S0_S0_S0_S0_S0_S0_biiiiPfS1_
	.globl	_Z19selective_scan_basePKfS0_S0_S0_S0_S0_S0_S0_biiiiPfS1_
	.p2align	8
	.type	_Z19selective_scan_basePKfS0_S0_S0_S0_S0_S0_S0_biiiiPfS1_,@function
_Z19selective_scan_basePKfS0_S0_S0_S0_S0_S0_S0_biiiiPfS1_: ; @_Z19selective_scan_basePKfS0_S0_S0_S0_S0_S0_S0_biiiiPfS1_
; %bb.0:
	s_load_dword s0, s[4:5], 0x74
	s_load_dwordx4 s[16:19], s[4:5], 0x40
	s_waitcnt lgkmcnt(0)
	s_and_b32 s0, s0, 0xffff
	s_mul_i32 s7, s7, s0
	v_add_u32_e32 v8, s7, v0
	s_cmp_lt_i32 s6, s17
	s_cselect_b64 s[0:1], -1, 0
	v_cmp_gt_i32_e32 vcc, s18, v8
	s_and_b64 s[0:1], s[0:1], vcc
	s_and_saveexec_b64 s[2:3], s[0:1]
	s_cbranch_execz .LBB0_16
; %bb.1:
	s_load_dwordx8 s[20:27], s[4:5], 0x20
	v_ashrrev_i32_e32 v9, 31, v8
	v_lshlrev_b64 v[0:1], 2, v[8:9]
	s_cmp_gt_i32 s19, 0
	s_mul_i32 s0, s6, s18
	s_waitcnt lgkmcnt(0)
	v_mov_b32_e32 v3, s25
	v_add_co_u32_e32 v2, vcc, s24, v0
	v_addc_co_u32_e32 v3, vcc, v3, v1, vcc
	global_load_dword v14, v[2:3], off
	v_mov_b32_e32 v2, s23
	v_add_co_u32_e32 v0, vcc, s22, v0
	v_addc_co_u32_e32 v1, vcc, v2, v1, vcc
	global_load_dword v16, v[0:1], off
	s_load_dwordx8 s[36:43], s[4:5], 0x0
	s_load_dwordx4 s[28:31], s[4:5], 0x58
	s_load_dword s33, s[4:5], 0x50
	s_cselect_b64 s[22:23], -1, 0
	s_cmp_lt_i32 s19, 1
	v_add_u32_e32 v15, s0, v8
	s_cbranch_scc1 .LBB0_5
; %bb.2:
	v_mul_lo_u32 v0, v15, s19
	v_ashrrev_i32_e32 v1, 31, v0
	v_lshlrev_b64 v[0:1], 2, v[0:1]
	s_waitcnt lgkmcnt(0)
	v_mov_b32_e32 v2, s29
	v_add_co_u32_e32 v10, vcc, s28, v0
	v_addc_co_u32_e32 v11, vcc, v2, v1, vcc
	s_mov_b64 s[24:25], 0
                                        ; implicit-def: $vgpr0
.LBB0_3:                                ; =>This Inner Loop Header: Depth=1
	global_load_dword v9, v[10:11], off
	v_add_co_u32_e32 v10, vcc, 4, v10
	s_cmp_eq_u32 s24, 7
	v_addc_co_u32_e32 v11, vcc, 0, v11, vcc
	s_cselect_b64 vcc, -1, 0
	s_cmp_eq_u32 s24, 6
	s_cselect_b64 s[0:1], -1, 0
	s_cmp_eq_u32 s24, 5
	s_cselect_b64 s[2:3], -1, 0
	;; [unrolled: 2-line block ×7, first 2 shown]
	s_add_u32 s24, s24, 1
	s_addc_u32 s25, s25, 0
	s_cmp_eq_u32 s19, s24
	s_waitcnt vmcnt(0)
	v_cndmask_b32_e32 v7, v7, v9, vcc
	v_cndmask_b32_e64 v6, v6, v9, s[0:1]
	v_cndmask_b32_e64 v5, v5, v9, s[2:3]
	;; [unrolled: 1-line block ×7, first 2 shown]
	s_cbranch_scc0 .LBB0_3
; %bb.4:
	v_cndmask_b32_e64 v9, 0, 1, s[22:23]
	s_cmp_lt_i32 s33, 1
	v_cmp_ne_u32_e64 s[0:1], 1, v9
	s_cbranch_scc0 .LBB0_6
	s_branch .LBB0_13
.LBB0_5:
                                        ; implicit-def: $vgpr0_vgpr1_vgpr2_vgpr3_vgpr4_vgpr5_vgpr6_vgpr7
	v_cndmask_b32_e64 v9, 0, 1, s[22:23]
	s_waitcnt lgkmcnt(0)
	s_cmp_lt_i32 s33, 1
	v_cmp_ne_u32_e64 s[0:1], 1, v9
	s_cbranch_scc1 .LBB0_13
.LBB0_6:
	v_mul_lo_u32 v8, v8, s19
	v_ashrrev_i32_e32 v9, 31, v8
	s_bitcmp1_b32 s16, 0
	v_lshlrev_b64 v[8:9], 2, v[8:9]
	s_cselect_b64 s[2:3], -1, 0
	s_cmp_lg_u64 s[26:27], 0
	v_mov_b32_e32 v10, s41
	v_add_co_u32_e32 v8, vcc, s40, v8
	s_mul_i32 s4, s6, s33
	v_mul_lo_u32 v17, v15, s33
	s_cselect_b64 s[22:23], -1, 0
	v_addc_co_u32_e32 v9, vcc, v10, v9, vcc
	s_mul_i32 s18, s4, s19
	s_mov_b32 s40, 0
	v_mov_b32_e32 v18, s37
	s_mov_b32 s37, 0x41a00000
	s_mov_b32 s41, 0x800000
	s_mov_b32 s44, 0x3f317217
	s_mov_b32 s45, 0x7f800000
	v_mov_b32_e32 v19, 0x4f800000
	v_mov_b32_e32 v20, 0x41b17218
	s_branch .LBB0_8
.LBB0_7:                                ;   in Loop: Header=BB0_8 Depth=1
	v_mov_b32_e32 v12, s31
	v_add_co_u32_e32 v10, vcc, s30, v10
	s_add_i32 s40, s40, 1
	s_add_i32 s18, s18, 1
	v_addc_co_u32_e32 v11, vcc, v12, v11, vcc
	s_cmp_eq_u32 s40, s33
	global_store_dword v[10:11], v21, off
	s_cbranch_scc1 .LBB0_13
.LBB0_8:                                ; =>This Loop Header: Depth=1
                                        ;     Child Loop BB0_10 Depth 2
	v_add_u32_e32 v10, s40, v17
	v_ashrrev_i32_e32 v11, 31, v10
	v_lshlrev_b64 v[10:11], 2, v[10:11]
	v_add_co_u32_e32 v12, vcc, s36, v10
	v_addc_co_u32_e32 v13, vcc, v18, v11, vcc
	global_load_dword v22, v[12:13], off
	s_and_b64 vcc, exec, s[0:1]
	s_waitcnt vmcnt(0)
	v_mul_f32_e32 v21, v16, v22
	s_cbranch_vccnz .LBB0_11
; %bb.9:                                ;   in Loop: Header=BB0_8 Depth=1
	v_mov_b32_e32 v13, s39
	v_add_co_u32_e32 v12, vcc, s38, v10
	v_addc_co_u32_e32 v13, vcc, v13, v11, vcc
	global_load_dword v12, v[12:13], off
	s_mov_b64 s[24:25], 0
	s_mov_b32 s34, s18
	s_waitcnt vmcnt(0)
	v_add_f32_e32 v12, v14, v12
	v_mul_f32_e32 v13, 0x3fb8aa3b, v12
	v_exp_f32_e32 v13, v13
	v_add_f32_e32 v13, 1.0, v13
	v_cmp_gt_f32_e32 vcc, s41, v13
	v_cndmask_b32_e32 v23, 1.0, v19, vcc
	v_mul_f32_e32 v13, v13, v23
	v_log_f32_e32 v13, v13
	v_cndmask_b32_e32 v23, 0, v20, vcc
	v_mul_f32_e32 v24, 0x3f317217, v13
	v_fma_f32 v24, v13, s44, -v24
	v_fmac_f32_e32 v24, 0x3377d1cf, v13
	v_fmac_f32_e32 v24, 0x3f317217, v13
	v_cmp_lt_f32_e64 vcc, |v13|, s45
	v_cndmask_b32_e32 v13, v13, v24, vcc
	v_sub_f32_e32 v13, v13, v23
	v_cmp_lt_f32_e32 vcc, s37, v12
	v_cndmask_b32_e32 v13, v13, v12, vcc
	v_cndmask_b32_e64 v23, v12, v13, s[2:3]
	v_pk_mov_b32 v[12:13], v[8:9], v[8:9] op_sel:[0,1]
.LBB0_10:                               ;   Parent Loop BB0_8 Depth=1
                                        ; =>  This Inner Loop Header: Depth=2
	global_load_dword v24, v[12:13], off
	s_ashr_i32 s35, s34, 31
	s_lshl_b64 s[46:47], s[34:35], 2
	s_add_u32 s4, s42, s46
	v_add_co_u32_e32 v12, vcc, 4, v12
	s_addc_u32 s5, s43, s47
	v_addc_co_u32_e32 v13, vcc, 0, v13, vcc
	s_load_dword s10, s[4:5], 0x0
	s_cmp_eq_u32 s24, 1
	s_cselect_b64 vcc, -1, 0
	s_cmp_eq_u32 s24, 2
	v_cndmask_b32_e32 v25, v0, v1, vcc
	s_cselect_b64 s[4:5], -1, 0
	s_cmp_eq_u32 s24, 3
	v_cndmask_b32_e64 v25, v25, v2, s[4:5]
	s_cselect_b64 s[6:7], -1, 0
	s_cmp_eq_u32 s24, 4
	v_cndmask_b32_e64 v25, v25, v3, s[6:7]
	;; [unrolled: 3-line block ×3, first 2 shown]
	s_waitcnt lgkmcnt(0)
	v_mul_f32_e32 v26, s10, v23
	s_cselect_b64 s[10:11], -1, 0
	s_cmp_eq_u32 s24, 6
	v_cndmask_b32_e64 v25, v25, v5, s[10:11]
	s_cselect_b64 s[12:13], -1, 0
	s_cmp_eq_u32 s24, 7
	v_cndmask_b32_e64 v25, v25, v6, s[12:13]
	s_cselect_b64 s[14:15], -1, 0
	v_cndmask_b32_e64 v25, v25, v7, s[14:15]
	s_cmp_eq_u32 s24, 0
	s_cselect_b64 s[16:17], -1, 0
	s_add_u32 s46, s20, s46
	s_addc_u32 s47, s21, s47
	s_add_u32 s24, s24, 1
	s_addc_u32 s25, s25, 0
	s_add_i32 s34, s34, s33
	s_cmp_eq_u32 s19, s24
	s_waitcnt vmcnt(0)
	v_mul_f32_e32 v24, v23, v24
	v_mul_f32_e32 v24, 0x3fb8aa3b, v24
	v_exp_f32_e32 v24, v24
	v_mul_f32_e32 v24, v25, v24
	v_fmac_f32_e32 v24, v22, v26
	v_cndmask_b32_e64 v2, v2, v24, s[4:5]
	s_load_dword s4, s[46:47], 0x0
	v_cndmask_b32_e64 v7, v7, v24, s[14:15]
	v_cndmask_b32_e64 v6, v6, v24, s[12:13]
	;; [unrolled: 1-line block ×5, first 2 shown]
	v_cndmask_b32_e32 v1, v1, v24, vcc
	v_cndmask_b32_e64 v0, v0, v24, s[16:17]
	s_waitcnt lgkmcnt(0)
	v_fmac_f32_e32 v21, s4, v24
	s_cbranch_scc0 .LBB0_10
.LBB0_11:                               ;   in Loop: Header=BB0_8 Depth=1
	s_and_b64 vcc, exec, s[22:23]
	s_cbranch_vccz .LBB0_7
; %bb.12:                               ;   in Loop: Header=BB0_8 Depth=1
	v_mov_b32_e32 v13, s27
	v_add_co_u32_e32 v12, vcc, s26, v10
	v_addc_co_u32_e32 v13, vcc, v13, v11, vcc
	global_load_dword v12, v[12:13], off
	s_waitcnt vmcnt(0)
	v_mul_f32_e32 v13, 0xbfb8aa3b, v12
	v_exp_f32_e32 v13, v13
	v_add_f32_e32 v13, 1.0, v13
	v_div_scale_f32 v22, s[4:5], v13, v13, v12
	v_rcp_f32_e32 v23, v22
	v_div_scale_f32 v24, vcc, v12, v13, v12
	v_fma_f32 v25, -v22, v23, 1.0
	v_fmac_f32_e32 v23, v25, v23
	v_mul_f32_e32 v25, v24, v23
	v_fma_f32 v26, -v22, v25, v24
	v_fmac_f32_e32 v25, v26, v23
	v_fma_f32 v22, -v22, v25, v24
	v_div_fmas_f32 v22, v22, v23, v25
	v_div_fixup_f32 v12, v22, v13, v12
	v_mul_f32_e32 v21, v21, v12
	s_branch .LBB0_7
.LBB0_13:
	s_and_b64 vcc, exec, s[0:1]
	s_cbranch_vccnz .LBB0_16
; %bb.14:
	v_mul_lo_u32 v8, v15, s19
	v_ashrrev_i32_e32 v9, 31, v8
	v_lshlrev_b64 v[8:9], 2, v[8:9]
	v_mov_b32_e32 v10, s29
	v_add_co_u32_e32 v8, vcc, s28, v8
	v_addc_co_u32_e32 v9, vcc, v10, v9, vcc
	s_mov_b64 s[0:1], 0
.LBB0_15:                               ; =>This Inner Loop Header: Depth=1
	s_cmp_eq_u32 s0, 1
	s_cselect_b64 vcc, -1, 0
	s_cmp_eq_u32 s0, 2
	v_cndmask_b32_e32 v10, v0, v1, vcc
	s_cselect_b64 vcc, -1, 0
	s_cmp_eq_u32 s0, 3
	v_cndmask_b32_e32 v10, v10, v2, vcc
	;; [unrolled: 3-line block ×6, first 2 shown]
	s_cselect_b64 vcc, -1, 0
	v_cndmask_b32_e32 v10, v10, v7, vcc
	s_add_u32 s0, s0, 1
	global_store_dword v[8:9], v10, off
	s_addc_u32 s1, s1, 0
	v_add_co_u32_e32 v8, vcc, 4, v8
	s_cmp_lg_u32 s19, s0
	v_addc_co_u32_e32 v9, vcc, 0, v9, vcc
	s_cbranch_scc1 .LBB0_15
.LBB0_16:
	s_endpgm
	.section	.rodata,"a",@progbits
	.p2align	6, 0x0
	.amdhsa_kernel _Z19selective_scan_basePKfS0_S0_S0_S0_S0_S0_S0_biiiiPfS1_
		.amdhsa_group_segment_fixed_size 0
		.amdhsa_private_segment_fixed_size 0
		.amdhsa_kernarg_size 360
		.amdhsa_user_sgpr_count 6
		.amdhsa_user_sgpr_private_segment_buffer 1
		.amdhsa_user_sgpr_dispatch_ptr 0
		.amdhsa_user_sgpr_queue_ptr 0
		.amdhsa_user_sgpr_kernarg_segment_ptr 1
		.amdhsa_user_sgpr_dispatch_id 0
		.amdhsa_user_sgpr_flat_scratch_init 0
		.amdhsa_user_sgpr_kernarg_preload_length 0
		.amdhsa_user_sgpr_kernarg_preload_offset 0
		.amdhsa_user_sgpr_private_segment_size 0
		.amdhsa_uses_dynamic_stack 0
		.amdhsa_system_sgpr_private_segment_wavefront_offset 0
		.amdhsa_system_sgpr_workgroup_id_x 1
		.amdhsa_system_sgpr_workgroup_id_y 1
		.amdhsa_system_sgpr_workgroup_id_z 0
		.amdhsa_system_sgpr_workgroup_info 0
		.amdhsa_system_vgpr_workitem_id 0
		.amdhsa_next_free_vgpr 27
		.amdhsa_next_free_sgpr 48
		.amdhsa_accum_offset 28
		.amdhsa_reserve_vcc 1
		.amdhsa_reserve_flat_scratch 0
		.amdhsa_float_round_mode_32 0
		.amdhsa_float_round_mode_16_64 0
		.amdhsa_float_denorm_mode_32 3
		.amdhsa_float_denorm_mode_16_64 3
		.amdhsa_dx10_clamp 1
		.amdhsa_ieee_mode 1
		.amdhsa_fp16_overflow 0
		.amdhsa_tg_split 0
		.amdhsa_exception_fp_ieee_invalid_op 0
		.amdhsa_exception_fp_denorm_src 0
		.amdhsa_exception_fp_ieee_div_zero 0
		.amdhsa_exception_fp_ieee_overflow 0
		.amdhsa_exception_fp_ieee_underflow 0
		.amdhsa_exception_fp_ieee_inexact 0
		.amdhsa_exception_int_div_zero 0
	.end_amdhsa_kernel
	.text
.Lfunc_end0:
	.size	_Z19selective_scan_basePKfS0_S0_S0_S0_S0_S0_S0_biiiiPfS1_, .Lfunc_end0-_Z19selective_scan_basePKfS0_S0_S0_S0_S0_S0_S0_biiiiPfS1_
                                        ; -- End function
	.section	.AMDGPU.csdata,"",@progbits
; Kernel info:
; codeLenInByte = 1368
; NumSgprs: 52
; NumVgprs: 27
; NumAgprs: 0
; TotalNumVgprs: 27
; ScratchSize: 0
; MemoryBound: 0
; FloatMode: 240
; IeeeMode: 1
; LDSByteSize: 0 bytes/workgroup (compile time only)
; SGPRBlocks: 6
; VGPRBlocks: 3
; NumSGPRsForWavesPerEU: 52
; NumVGPRsForWavesPerEU: 27
; AccumOffset: 28
; Occupancy: 8
; WaveLimiterHint : 0
; COMPUTE_PGM_RSRC2:SCRATCH_EN: 0
; COMPUTE_PGM_RSRC2:USER_SGPR: 6
; COMPUTE_PGM_RSRC2:TRAP_HANDLER: 0
; COMPUTE_PGM_RSRC2:TGID_X_EN: 1
; COMPUTE_PGM_RSRC2:TGID_Y_EN: 1
; COMPUTE_PGM_RSRC2:TGID_Z_EN: 0
; COMPUTE_PGM_RSRC2:TIDIG_COMP_CNT: 0
; COMPUTE_PGM_RSRC3_GFX90A:ACCUM_OFFSET: 6
; COMPUTE_PGM_RSRC3_GFX90A:TG_SPLIT: 0
	.section	.text._Z26selective_scan_vllm_kernelI18SSMFwdKernelTraitsILi128ELi4ELi8ELb1ELb1ELb1EEEv13SSMParamsBase,"axG",@progbits,_Z26selective_scan_vllm_kernelI18SSMFwdKernelTraitsILi128ELi4ELi8ELb1ELb1ELb1EEEv13SSMParamsBase,comdat
	.protected	_Z26selective_scan_vllm_kernelI18SSMFwdKernelTraitsILi128ELi4ELi8ELb1ELb1ELb1EEEv13SSMParamsBase ; -- Begin function _Z26selective_scan_vllm_kernelI18SSMFwdKernelTraitsILi128ELi4ELi8ELb1ELb1ELb1EEEv13SSMParamsBase
	.globl	_Z26selective_scan_vllm_kernelI18SSMFwdKernelTraitsILi128ELi4ELi8ELb1ELb1ELb1EEEv13SSMParamsBase
	.p2align	8
	.type	_Z26selective_scan_vllm_kernelI18SSMFwdKernelTraitsILi128ELi4ELi8ELb1ELb1ELb1EEEv13SSMParamsBase,@function
_Z26selective_scan_vllm_kernelI18SSMFwdKernelTraitsILi128ELi4ELi8ELb1ELb1ELb1EEEv13SSMParamsBase: ; @_Z26selective_scan_vllm_kernelI18SSMFwdKernelTraitsILi128ELi4ELi8ELb1ELb1ELb1EEEv13SSMParamsBase
; %bb.0:
	s_load_dword s12, s[4:5], 0x4
	s_load_dword s33, s[4:5], 0x10
	s_add_u32 s0, s0, s10
	s_addc_u32 s1, s1, 0
	s_load_dwordx16 s[36:51], s[4:5], 0x18
	s_load_dwordx8 s[52:59], s[4:5], 0x58
	s_waitcnt lgkmcnt(0)
	s_abs_i32 s13, s12
	v_cvt_f32_u32_e32 v1, s13
	s_load_dwordx2 s[26:27], s[4:5], 0x88
	s_load_dwordx4 s[60:63], s[4:5], 0x78
	s_sub_i32 s6, 0, s13
	s_abs_i32 s14, s8
	v_rcp_iflag_f32_e32 v1, v1
	s_ashr_i32 s15, s8, 31
	v_cmp_ne_u32_e64 s[4:5], 0, v0
	s_ashr_i32 s16, s12, 31
	v_mul_f32_e32 v1, 0x4f7ffffe, v1
	v_cvt_u32_f32_e32 v1, v1
	v_readfirstlane_b32 s7, v1
	s_mul_i32 s6, s6, s7
	s_mul_hi_u32 s6, s7, s6
	s_add_i32 s7, s7, s6
	s_mul_hi_u32 s17, s14, s7
	v_cmp_eq_u32_e64 s[6:7], 0, v0
	s_and_saveexec_b64 s[10:11], s[6:7]
	s_cbranch_execz .LBB1_2
; %bb.1:
	v_mov_b32_e32 v2, 0x7f
	v_mov_b32_e32 v3, 3
	v_mov_b32_e32 v1, 0
	ds_write_b64 v1, v[2:3] offset:36944
.LBB1_2:
	s_or_b64 exec, exec, s[10:11]
	s_mul_i32 s11, s17, s13
	s_sub_i32 s11, s14, s11
	s_xor_b32 s10, s15, s16
	s_add_i32 s14, s17, 1
	s_sub_i32 s15, s11, s13
	s_cmp_ge_u32 s11, s13
	s_cselect_b32 s14, s14, s17
	s_cselect_b32 s11, s15, s11
	s_add_i32 s15, s14, 1
	s_cmp_ge_u32 s11, s13
	s_cselect_b32 s11, s15, s14
	s_xor_b32 s11, s11, s10
	s_sub_i32 s30, s11, s10
	s_mul_i32 s10, s30, s12
	s_sub_i32 s28, s8, s10
	s_waitcnt lgkmcnt(0)
	s_mul_i32 s10, s30, s60
	s_ashr_i32 s11, s10, 31
	s_lshl_b32 s66, s9, 9
	s_lshl_b64 s[64:65], s[10:11], 2
	s_add_u32 s12, s36, s64
	s_mul_i32 s10, s28, s61
	s_addc_u32 s13, s37, s65
	s_ashr_i32 s11, s10, 31
	s_lshl_b64 s[36:37], s[10:11], 2
	s_add_u32 s10, s12, s36
	s_addc_u32 s11, s13, s37
	s_add_u32 s12, s38, s64
	v_lshlrev_b32_e32 v1, 2, v0
	s_addc_u32 s13, s39, s65
	v_or_b32_e32 v2, s66, v1
	s_add_u32 s12, s12, s36
	v_ashrrev_i32_e32 v3, 31, v2
	s_addc_u32 s13, s13, s37
	v_lshlrev_b64 v[2:3], 2, v[2:3]
	v_mov_b32_e32 v5, s13
	v_add_co_u32_e32 v4, vcc, s12, v2
	v_addc_co_u32_e32 v5, vcc, v5, v3, vcc
	s_barrier
	global_load_dwordx4 v[4:7], v[4:5], off
	v_mov_b32_e32 v9, s11
	v_add_co_u32_e32 v8, vcc, s10, v2
	v_addc_co_u32_e32 v9, vcc, v9, v3, vcc
	global_load_dwordx4 v[8:11], v[8:9], off
	s_ashr_i32 s29, s28, 31
	s_lshl_b64 s[16:17], s[28:29], 2
	s_add_u32 s10, s48, s16
	s_addc_u32 s11, s49, s17
	s_load_dword s10, s[10:11], 0x0
	s_add_i32 s11, 0, 0x810
	v_lshlrev_b32_e32 v14, 4, v0
	v_add_u32_e32 v33, 0, v14
	v_add3_u32 v34, 0, 16, v14
	v_add_u32_e32 v36, s11, v14
	v_mov_b32_e32 v32, 0
	s_mov_b32 s14, 0x800000
	ds_read_b64 v[12:13], v32 offset:36944
	v_mov_b32_e32 v18, 0x4f800000
	s_mov_b32 s19, 0x3f317217
	s_mov_b32 s20, 0x7f800000
	v_mov_b32_e32 v19, 0x41b17218
	s_mov_b32 s18, 0x41a00000
	v_add_u32_e32 v35, 0x810, v33
	s_mul_i32 s8, s8, s33
	s_mov_b32 s68, 0
	v_cmp_gt_u32_e64 s[22:23], 2, v0
	v_cmp_lt_u32_e64 s[24:25], 63, v0
	v_lshl_add_u32 v39, v0, 3, 0
	v_add_u32_e32 v42, 0x1010, v33
	s_waitcnt vmcnt(0)
	ds_write2_b32 v33, v8, v9 offset0:4 offset1:5
	ds_write2_b32 v34, v10, v11 offset0:2 offset1:3
	s_waitcnt lgkmcnt(0)
	v_pk_add_f32 v[4:5], v[4:5], s[10:11] op_sel_hi:[1,0]
	v_mul_f32_e32 v14, 0x3fb8aa3b, v4
	v_mul_f32_e32 v15, 0x3fb8aa3b, v5
	v_pk_add_f32 v[6:7], v[6:7], s[10:11] op_sel_hi:[1,0]
	v_exp_f32_e32 v14, v14
	v_exp_f32_e32 v15, v15
	v_mul_f32_e32 v16, 0x3fb8aa3b, v6
	v_mul_f32_e32 v17, 0x3fb8aa3b, v7
	v_exp_f32_e32 v16, v16
	v_exp_f32_e32 v17, v17
	v_pk_add_f32 v[8:9], v[14:15], 1.0 op_sel_hi:[1,0]
	v_cmp_gt_f32_e32 vcc, s14, v8
	v_cndmask_b32_e32 v14, 1.0, v18, vcc
	v_pk_add_f32 v[10:11], v[16:17], 1.0 op_sel_hi:[1,0]
	v_cmp_gt_f32_e64 s[10:11], s14, v9
	v_cndmask_b32_e64 v15, 1.0, v18, s[10:11]
	v_cmp_gt_f32_e64 s[12:13], s14, v10
	v_mul_f32_e32 v8, v8, v14
	v_cndmask_b32_e64 v16, 1.0, v18, s[12:13]
	v_mul_f32_e32 v9, v9, v15
	v_log_f32_e32 v8, v8
	v_mul_f32_e32 v10, v10, v16
	v_log_f32_e32 v9, v9
	v_log_f32_e32 v10, v10
	v_cmp_gt_f32_e64 s[14:15], s14, v11
	v_cndmask_b32_e64 v17, 1.0, v18, s[14:15]
	v_mul_f32_e32 v16, 0x3f317217, v8
	v_mul_f32_e32 v11, v11, v17
	;; [unrolled: 1-line block ×3, first 2 shown]
	v_fma_f32 v16, v8, s19, -v16
	v_mul_f32_e32 v18, 0x3f317217, v10
	v_fma_f32 v17, v9, s19, -v17
	v_fmac_f32_e32 v16, 0x3377d1cf, v8
	v_cndmask_b32_e32 v14, 0, v19, vcc
	v_fma_f32 v18, v10, s19, -v18
	v_fmac_f32_e32 v17, 0x3377d1cf, v9
	v_fmac_f32_e32 v16, 0x3f317217, v8
	v_cmp_lt_f32_e64 vcc, |v8|, s20
	v_fmac_f32_e32 v18, 0x3377d1cf, v10
	v_fmac_f32_e32 v17, 0x3f317217, v9
	v_cndmask_b32_e32 v8, v8, v16, vcc
	v_cmp_lt_f32_e64 vcc, |v9|, s20
	v_cndmask_b32_e64 v15, 0, v19, s[10:11]
	v_log_f32_e32 v11, v11
	v_fmac_f32_e32 v18, 0x3f317217, v10
	v_cndmask_b32_e32 v9, v9, v17, vcc
	v_cmp_lt_f32_e64 vcc, |v10|, s20
	v_cndmask_b32_e32 v10, v10, v18, vcc
	v_sub_f32_e32 v9, v9, v15
	v_cmp_lt_f32_e32 vcc, s18, v5
	v_sub_f32_e32 v8, v8, v14
	v_cndmask_b32_e32 v5, v9, v5, vcc
	v_cmp_lt_f32_e32 vcc, s18, v4
	v_cndmask_b32_e32 v4, v8, v4, vcc
	ds_write2_b32 v35, v4, v5 offset1:1
	v_mul_f32_e32 v5, 0x3f317217, v11
	v_fma_f32 v5, v11, s19, -v5
	v_fmac_f32_e32 v5, 0x3377d1cf, v11
	v_fmac_f32_e32 v5, 0x3f317217, v11
	v_cmp_lt_f32_e64 vcc, |v11|, s20
	v_cndmask_b32_e32 v5, v11, v5, vcc
	v_cndmask_b32_e64 v8, 0, v19, s[14:15]
	v_cndmask_b32_e64 v4, 0, v19, s[12:13]
	v_sub_f32_e32 v5, v5, v8
	v_cmp_lt_f32_e32 vcc, s18, v7
	v_sub_f32_e32 v4, v10, v4
	v_cndmask_b32_e32 v5, v5, v7, vcc
	v_cmp_lt_f32_e32 vcc, s18, v6
	s_add_u32 s10, s46, s16
	v_cndmask_b32_e32 v4, v4, v6, vcc
	s_addc_u32 s11, s47, s17
	ds_write2_b32 v36, v4, v5 offset0:2 offset1:3
	s_waitcnt lgkmcnt(0)
	s_barrier
	s_load_dword s10, s[10:11], 0x0
	ds_read2_b32 v[4:5], v34 offset0:2 offset1:3
	ds_read2_b32 v[6:7], v33 offset0:4 offset1:5
	v_mbcnt_lo_u32_b32 v8, -1, 0
	v_mbcnt_hi_u32_b32 v8, -1, v8
	v_and_b32_e32 v9, 15, v8
	s_waitcnt lgkmcnt(0)
	v_pk_mul_f32 v[4:5], s[10:11], v[4:5] op_sel_hi:[0,1]
	v_pk_mul_f32 v[6:7], s[10:11], v[6:7] op_sel_hi:[0,1]
	v_cmp_eq_u32_e64 s[34:35], 0, v9
	v_cmp_lt_u32_e64 s[10:11], 1, v9
	v_cmp_lt_u32_e64 s[12:13], 3, v9
	;; [unrolled: 1-line block ×3, first 2 shown]
	v_and_b32_e32 v9, 16, v8
	s_lshl_b32 s46, s28, 3
	v_cmp_eq_u32_e64 s[16:17], 0, v9
	v_or_b32_e32 v9, 63, v0
	s_mul_i32 s47, s30, s62
	v_cmp_eq_u32_e64 s[20:21], v9, v0
	v_add_u32_e32 v9, -1, v8
	v_and_b32_e32 v10, 64, v8
	s_cmp_lg_u32 s9, 0
	s_mul_i32 s30, s30, s26
	s_mul_i32 s62, s28, s27
	v_cmp_lt_i32_e32 vcc, v9, v10
	s_cselect_b64 s[38:39], -1, 0
	s_add_i32 s62, s62, s30
	s_ashr_i32 s69, s9, 31
	v_cndmask_b32_e32 v9, v9, v8, vcc
	s_add_u32 s70, s56, -4
	v_lshlrev_b32_e32 v37, 2, v9
	v_lshrrev_b32_e32 v9, 3, v0
	s_addc_u32 s71, s57, -1
	v_and_b32_e32 v9, 8, v9
	s_add_u32 s72, s58, -4
	v_cmp_lt_u32_e64 s[18:19], 31, v8
	v_add_u32_e32 v38, 0, v9
	v_and_b32_e32 v9, 1, v8
	v_cmp_eq_u32_e64 s[28:29], 0, v8
	v_lshlrev_b32_e32 v8, 3, v13
	s_addc_u32 s73, s59, -1
	s_add_i32 s47, s47, s66
	v_add_u32_e32 v41, 0, v8
	v_add_u32_e32 v8, s47, v1
	s_ashr_i32 s47, s46, 31
	s_lshl_b32 s8, s8, 3
	s_lshl_b64 s[46:47], s[46:47], 2
	s_add_u32 s40, s40, s46
	v_cmp_eq_u32_e64 s[26:27], 0, v9
	v_add_u32_e32 v40, -8, v38
	v_cmp_eq_u32_e64 s[30:31], v0, v12
	s_addc_u32 s41, s41, s47
	s_add_i32 s74, 0, 0x9010
	s_mov_b32 s46, s62
	s_branch .LBB1_4
.LBB1_3:                                ;   in Loop: Header=BB1_4 Depth=1
	s_or_b64 exec, exec, s[48:49]
	s_add_i32 s74, s74, 4
	s_addk_i32 s68, 0x800
	s_add_i32 s46, s46, 1
	s_add_i32 s8, s8, s33
	v_mov_b32_e32 v10, v11
	s_add_u32 s40, s40, 4
	s_waitcnt vmcnt(4)
	v_pk_fma_f32 v[18:19], v[10:11], v[18:19], v[20:21] op_sel_hi:[0,1,1]
	s_waitcnt vmcnt(0)
	v_pk_fma_f32 v[10:11], v[10:11], v[12:13], v[14:15] op_sel_hi:[0,1,1]
	s_addc_u32 s41, s41, 0
	s_waitcnt lgkmcnt(1)
	v_pk_fma_f32 v[6:7], v[22:23], v[18:19], v[6:7]
	s_waitcnt lgkmcnt(0)
	v_pk_fma_f32 v[4:5], v[16:17], v[10:11], v[4:5]
	s_cmpk_eq_i32 s68, 0x4000
	v_add_u32_e32 v8, s63, v8
	s_barrier
	s_cbranch_scc1 .LBB1_22
.LBB1_4:                                ; =>This Inner Loop Header: Depth=1
	s_and_saveexec_b64 s[48:49], s[6:7]
	s_cbranch_execz .LBB1_9
; %bb.5:                                ;   in Loop: Header=BB1_4 Depth=1
	s_and_b64 vcc, exec, s[38:39]
	s_cbranch_vccz .LBB1_21
; %bb.6:                                ;   in Loop: Header=BB1_4 Depth=1
	s_ashr_i32 s47, s8, 31
	s_add_u32 s60, s9, s8
	s_addc_u32 s61, s69, s47
	s_lshl_b64 s[60:61], s[60:61], 2
	s_add_u32 s66, s70, s60
	s_addc_u32 s67, s71, s61
	global_load_dword v1, v32, s[66:67]
	s_add_u32 s60, s72, s60
	s_addc_u32 s61, s73, s61
	s_cbranch_execnz .LBB1_8
.LBB1_7:                                ;   in Loop: Header=BB1_4 Depth=1
	s_ashr_i32 s47, s46, 31
	s_lshl_b64 s[60:61], s[46:47], 2
	s_add_u32 s60, s52, s60
	s_addc_u32 s61, s53, s61
	s_waitcnt vmcnt(0)
	v_mov_b32_e32 v1, 1.0
.LBB1_8:                                ;   in Loop: Header=BB1_4 Depth=1
	global_load_dword v9, v32, s[60:61]
	v_mov_b32_e32 v10, s74
	s_waitcnt vmcnt(0)
	ds_write2_b32 v10, v1, v9 offset1:8
.LBB1_9:                                ;   in Loop: Header=BB1_4 Depth=1
	s_or_b64 exec, exec, s[48:49]
	v_ashrrev_i32_e32 v9, 31, v8
	v_lshlrev_b64 v[14:15], 2, v[8:9]
	v_mov_b32_e32 v1, s43
	v_add_co_u32_e32 v10, vcc, s42, v14
	v_addc_co_u32_e32 v11, vcc, v1, v15, vcc
	v_mov_b32_e32 v1, s45
	v_add_co_u32_e32 v14, vcc, s44, v14
	global_load_dwordx4 v[10:13], v[10:11], off
	v_addc_co_u32_e32 v15, vcc, v1, v15, vcc
	global_load_dwordx4 v[14:17], v[14:15], off
	v_add_u32_e32 v1, s68, v42
	v_add_u32_e32 v9, 0x4000, v1
	;; [unrolled: 1-line block ×3, first 2 shown]
	s_waitcnt vmcnt(1)
	ds_write2_b32 v1, v10, v11 offset1:1
	s_waitcnt vmcnt(0)
	ds_write2_b32 v9, v14, v15 offset1:1
	ds_write2_b32 v1, v12, v13 offset0:2 offset1:3
	ds_write2_b32 v43, v16, v17 offset1:1
	s_waitcnt lgkmcnt(0)
	s_barrier
	global_load_dword v22, v32, s[40:41]
	v_mov_b32_e32 v10, s74
	ds_read2_b32 v[10:11], v10 offset1:8
	ds_read2_b32 v[12:13], v35 offset1:1
	;; [unrolled: 1-line block ×3, first 2 shown]
	ds_read2_b32 v[16:17], v1 offset0:2 offset1:3
	ds_read2_b32 v[18:19], v36 offset0:2 offset1:3
	ds_read2_b32 v[20:21], v33 offset0:4 offset1:5
	ds_read2_b32 v[24:25], v34 offset0:2 offset1:3
	s_waitcnt lgkmcnt(4)
	v_mul_f32_e32 v1, v12, v14
	v_mul_f32_e32 v14, v13, v15
	s_waitcnt lgkmcnt(2)
	v_mul_f32_e32 v15, v18, v16
	s_waitcnt lgkmcnt(1)
	v_mul_f32_e32 v44, v20, v1
	v_mul_f32_e32 v23, v21, v14
	;; [unrolled: 1-line block ×3, first 2 shown]
	s_waitcnt lgkmcnt(0)
	v_mul_f32_e32 v45, v24, v15
	v_mul_f32_e32 v21, v25, v16
	s_waitcnt vmcnt(0)
	v_mul_f32_e32 v1, v12, v22
	v_mul_f32_e32 v12, v13, v22
	;; [unrolled: 1-line block ×6, first 2 shown]
	v_exp_f32_e32 v22, v12
	v_mul_f32_e32 v13, 0x3fb8aa3b, v13
	v_exp_f32_e32 v12, v1
	v_mul_f32_e32 v14, 0x3fb8aa3b, v14
	v_exp_f32_e32 v26, v13
	v_exp_f32_e32 v27, v14
	v_mul_f32_e32 v13, v44, v22
	v_pk_mul_f32 v[14:15], v[12:13], v[22:23]
	v_pk_add_f32 v[16:17], v[12:13], v[22:23]
	v_fma_f32 v19, v17, v26, v45
	v_mov_b32_e32 v18, v14
	v_mov_b32_e32 v20, v27
	;; [unrolled: 1-line block ×3, first 2 shown]
	v_pk_mul_f32 v[16:17], v[18:19], v[26:27]
	v_pk_fma_f32 v[28:29], v[18:19], v[26:27], v[20:21]
	v_pk_mul_f32 v[24:25], v[16:17], v[20:21]
	s_nop 0
	v_mov_b32_dpp v13, v29 row_shr:1 row_mask:0xf bank_mask:0xf
	v_mov_b32_dpp v15, v24 row_shr:1 row_mask:0xf bank_mask:0xf
	v_fma_f32 v13, v24, v13, v29
	v_mul_f32_e32 v15, v24, v15
	v_cndmask_b32_e64 v13, v13, v29, s[34:35]
	v_cndmask_b32_e64 v15, v15, v24, s[34:35]
	s_nop 0
	v_mov_b32_dpp v17, v13 row_shr:2 row_mask:0xf bank_mask:0xf
	v_mov_b32_dpp v18, v15 row_shr:2 row_mask:0xf bank_mask:0xf
	v_fma_f32 v17, v15, v17, v13
	v_mul_f32_e32 v18, v15, v18
	v_cndmask_b32_e64 v13, v13, v17, s[10:11]
	v_cndmask_b32_e64 v15, v15, v18, s[10:11]
	;; [unrolled: 7-line block ×4, first 2 shown]
	s_nop 0
	v_mov_b32_dpp v17, v13 row_bcast:15 row_mask:0xf bank_mask:0xf
	v_mov_b32_dpp v18, v15 row_bcast:15 row_mask:0xf bank_mask:0xf
	v_fma_f32 v17, v15, v17, v13
	v_mul_f32_e32 v18, v15, v18
	v_cndmask_b32_e64 v17, v17, v13, s[16:17]
	v_cndmask_b32_e64 v18, v18, v15, s[16:17]
	s_nop 0
	v_mov_b32_dpp v13, v17 row_bcast:31 row_mask:0xf bank_mask:0xf
	v_mov_b32_dpp v15, v18 row_bcast:31 row_mask:0xf bank_mask:0xf
	v_fma_f32 v20, v18, v13, v17
	v_mul_f32_e32 v25, v18, v15
	v_cndmask_b32_e64 v13, v17, v20, s[18:19]
	v_cndmask_b32_e64 v15, v18, v25, s[18:19]
	s_and_saveexec_b64 s[48:49], s[20:21]
	s_cbranch_execz .LBB1_11
; %bb.10:                               ;   in Loop: Header=BB1_4 Depth=1
	v_cndmask_b32_e64 v17, v17, v20, s[18:19]
	v_cndmask_b32_e64 v18, v18, v25, s[18:19]
	ds_write2_b32 v38, v18, v17 offset1:1
.LBB1_11:                               ;   in Loop: Header=BB1_4 Depth=1
	s_or_b64 exec, exec, s[48:49]
	s_waitcnt lgkmcnt(0)
	s_barrier
	s_and_saveexec_b64 s[48:49], s[22:23]
	s_cbranch_execz .LBB1_13
; %bb.12:                               ;   in Loop: Header=BB1_4 Depth=1
	ds_read2_b32 v[30:31], v39 offset1:1
	s_waitcnt lgkmcnt(0)
	s_nop 0
	v_mov_b32_dpp v17, v30 row_shr:1 row_mask:0xf bank_mask:0xf
	v_mov_b32_dpp v18, v31 row_shr:1 row_mask:0xf bank_mask:0xf
	v_fma_f32 v18, v30, v18, v31
	v_mul_f32_e32 v17, v30, v17
	v_cndmask_b32_e64 v17, v17, v30, s[26:27]
	v_cndmask_b32_e64 v18, v18, v31, s[26:27]
	ds_write2_b32 v39, v17, v18 offset1:1
.LBB1_13:                               ;   in Loop: Header=BB1_4 Depth=1
	s_or_b64 exec, exec, s[48:49]
	s_waitcnt lgkmcnt(0)
	s_barrier
	s_waitcnt lgkmcnt(0)
                                        ; implicit-def: $vgpr30
	s_and_saveexec_b64 s[48:49], s[24:25]
	s_cbranch_execz .LBB1_15
; %bb.14:                               ;   in Loop: Header=BB1_4 Depth=1
	ds_read2_b32 v[30:31], v40 offset1:1
	s_waitcnt lgkmcnt(0)
	v_mul_f32_e32 v17, v15, v30
	v_fmac_f32_e32 v13, v15, v31
	v_mov_b32_e32 v15, v17
.LBB1_15:                               ;   in Loop: Header=BB1_4 Depth=1
	s_or_b64 exec, exec, s[48:49]
	ds_bpermute_b32 v15, v37, v15
	ds_bpermute_b32 v13, v37, v13
	s_and_saveexec_b64 s[48:49], s[4:5]
	s_xor_b64 s[48:49], exec, s[48:49]
	s_cbranch_execz .LBB1_17
; %bb.16:                               ;   in Loop: Header=BB1_4 Depth=1
	s_waitcnt lgkmcnt(1)
	v_cndmask_b32_e64 v1, v15, v30, s[28:29]
	v_mul_f32_e32 v24, v12, v1
	s_waitcnt lgkmcnt(0)
	v_cndmask_b32_e64 v1, v13, v31, s[28:29]
	v_fmac_f32_e32 v44, v12, v1
	v_fmac_f32_e32 v23, v44, v22
	v_mov_b32_e32 v25, v23
	v_mov_b32_e32 v12, v22
	;; [unrolled: 1-line block ×3, first 2 shown]
	v_pk_mul_f32 v[14:15], v[24:25], v[12:13]
	v_mul_f32_e32 v16, v14, v26
	v_add_f32_e32 v19, v15, v45
	v_mul_f32_e32 v20, v16, v27
	v_fmac_f32_e32 v21, v19, v27
	v_mov_b32_e32 v25, v44
	;;#ASMSTART
	;;#ASMEND
	v_mov_b32_e32 v1, v23
	v_pk_mov_b32 v[12:13], v[24:25], v[24:25] op_sel:[0,1]
	v_pk_mov_b32 v[24:25], v[20:21], v[20:21] op_sel:[0,1]
                                        ; implicit-def: $vgpr28_vgpr29
                                        ; implicit-def: $vgpr44
.LBB1_17:                               ;   in Loop: Header=BB1_4 Depth=1
	s_andn2_saveexec_b64 s[48:49], s[48:49]
	s_cbranch_execz .LBB1_19
; %bb.18:                               ;   in Loop: Header=BB1_4 Depth=1
	v_mov_b32_e32 v25, v29
	s_waitcnt lgkmcnt(0)
	v_mov_b32_e32 v13, v44
.LBB1_19:                               ;   in Loop: Header=BB1_4 Depth=1
	s_or_b64 exec, exec, s[48:49]
	s_waitcnt lgkmcnt(0)
	buffer_store_dword v13, off, s[0:3], 0 offset:4
	buffer_store_dword v12, off, s[0:3], 0
	buffer_store_dword v1, off, s[0:3], 0 offset:12
	buffer_store_dword v14, off, s[0:3], 0 offset:8
	;; [unrolled: 1-line block ×6, first 2 shown]
	s_barrier
	buffer_load_dword v18, off, s[0:3], 0
	buffer_load_dword v20, off, s[0:3], 0 offset:4
	buffer_load_dword v19, off, s[0:3], 0 offset:8
	;; [unrolled: 1-line block ×7, first 2 shown]
	ds_read2_b32 v[22:23], v9 offset1:1
	ds_read2_b32 v[16:17], v43 offset1:1
	s_and_saveexec_b64 s[48:49], s[30:31]
	s_cbranch_execz .LBB1_3
; %bb.20:                               ;   in Loop: Header=BB1_4 Depth=1
	buffer_load_dword v1, v41, s[0:3], 0 offen
	buffer_load_dword v9, v41, s[0:3], 0 offen offset:4
	s_add_i32 s60, s9, s8
	s_ashr_i32 s61, s60, 31
	s_lshl_b64 s[60:61], s[60:61], 2
	s_add_u32 s66, s56, s60
	s_addc_u32 s67, s57, s61
	v_mov_b32_e32 v24, s74
	s_add_u32 s60, s58, s60
	s_addc_u32 s61, s59, s61
	s_waitcnt vmcnt(1)
	v_mul_f32_e32 v10, v10, v1
	s_waitcnt vmcnt(0)
	v_fmac_f32_e32 v9, v11, v1
	global_store_dword v32, v10, s[66:67]
	global_store_dword v32, v9, s[60:61]
	ds_write2_b32 v24, v10, v9 offset1:8
	s_branch .LBB1_3
.LBB1_21:                               ;   in Loop: Header=BB1_4 Depth=1
                                        ; implicit-def: $sgpr60_sgpr61
                                        ; implicit-def: $vgpr1
	s_branch .LBB1_7
.LBB1_22:
	s_add_u32 s4, s50, s64
	s_addc_u32 s5, s51, s65
	s_add_u32 s4, s4, s36
	s_addc_u32 s5, s5, s37
	v_mov_b32_e32 v1, s5
	v_add_co_u32_e32 v8, vcc, s4, v2
	v_addc_co_u32_e32 v9, vcc, v1, v3, vcc
	global_load_dword v1, v[8:9], off
	s_add_u32 s4, s54, s64
	s_addc_u32 s5, s55, s65
	s_add_u32 s6, s4, s36
	s_addc_u32 s4, s5, s37
	v_mov_b32_e32 v11, s4
	v_add_co_u32_e32 v2, vcc, s6, v2
	v_addc_co_u32_e32 v3, vcc, v11, v3, vcc
	s_add_i32 s33, s33, -1
	s_cmp_eq_u32 s9, s33
	s_waitcnt vmcnt(0)
	v_mul_f32_e32 v10, 0xbfb8aa3b, v1
	v_exp_f32_e32 v10, v10
	v_add_f32_e32 v10, 1.0, v10
	v_div_scale_f32 v12, s[4:5], v10, v10, v1
	v_rcp_f32_e32 v13, v12
	v_div_scale_f32 v11, vcc, v1, v10, v1
	v_fma_f32 v14, -v12, v13, 1.0
	v_fmac_f32_e32 v13, v14, v13
	v_mul_f32_e32 v14, v11, v13
	v_fma_f32 v15, -v12, v14, v11
	v_fmac_f32_e32 v14, v15, v13
	v_fma_f32 v11, -v12, v14, v11
	v_div_fmas_f32 v11, v11, v13, v14
	v_div_fixup_f32 v1, v11, v10, v1
	v_mul_f32_e32 v1, v6, v1
	global_store_dword v[2:3], v1, off
	global_load_dword v1, v[8:9], off offset:4
	s_waitcnt vmcnt(0)
	v_mul_f32_e32 v6, 0xbfb8aa3b, v1
	v_exp_f32_e32 v6, v6
	v_add_f32_e32 v6, 1.0, v6
	v_div_scale_f32 v10, s[4:5], v6, v6, v1
	v_rcp_f32_e32 v11, v10
	v_div_scale_f32 v12, vcc, v1, v6, v1
	v_fma_f32 v13, -v10, v11, 1.0
	v_fmac_f32_e32 v11, v13, v11
	v_mul_f32_e32 v13, v12, v11
	v_fma_f32 v14, -v10, v13, v12
	v_fmac_f32_e32 v13, v14, v11
	v_fma_f32 v10, -v10, v13, v12
	v_div_fmas_f32 v10, v10, v11, v13
	v_div_fixup_f32 v1, v10, v6, v1
	v_mul_f32_e32 v1, v7, v1
	global_store_dword v[2:3], v1, off offset:4
	global_load_dword v1, v[8:9], off offset:8
	s_waitcnt vmcnt(0)
	v_mul_f32_e32 v6, 0xbfb8aa3b, v1
	v_exp_f32_e32 v6, v6
	v_add_f32_e32 v6, 1.0, v6
	v_div_scale_f32 v7, s[4:5], v6, v6, v1
	v_rcp_f32_e32 v10, v7
	v_div_scale_f32 v11, vcc, v1, v6, v1
	v_cmp_gt_u32_e64 s[4:5], 8, v0
	v_fma_f32 v12, -v7, v10, 1.0
	v_fmac_f32_e32 v10, v12, v10
	v_mul_f32_e32 v12, v11, v10
	v_fma_f32 v13, -v7, v12, v11
	v_fmac_f32_e32 v12, v13, v10
	v_fma_f32 v7, -v7, v12, v11
	v_div_fmas_f32 v7, v7, v10, v12
	v_div_fixup_f32 v1, v7, v6, v1
	v_mul_f32_e32 v1, v4, v1
	global_store_dword v[2:3], v1, off offset:8
	global_load_dword v1, v[8:9], off offset:12
	s_waitcnt vmcnt(0)
	v_mul_f32_e32 v4, 0xbfb8aa3b, v1
	v_exp_f32_e32 v4, v4
	v_add_f32_e32 v4, 1.0, v4
	v_div_scale_f32 v6, s[6:7], v4, v4, v1
	v_rcp_f32_e32 v7, v6
	v_div_scale_f32 v8, vcc, v1, v4, v1
	s_cselect_b64 s[6:7], -1, 0
	v_fma_f32 v9, -v6, v7, 1.0
	v_fmac_f32_e32 v7, v9, v7
	v_mul_f32_e32 v9, v8, v7
	v_fma_f32 v10, -v6, v9, v8
	v_fmac_f32_e32 v9, v10, v7
	v_fma_f32 v6, -v6, v9, v8
	v_div_fmas_f32 v6, v6, v7, v9
	v_div_fixup_f32 v1, v6, v4, v1
	v_mul_f32_e32 v1, v5, v1
	s_and_b64 s[4:5], s[4:5], s[6:7]
	global_store_dword v[2:3], v1, off offset:12
	s_and_saveexec_b64 s[6:7], s[4:5]
	s_cbranch_execz .LBB1_24
; %bb.23:
	v_lshl_add_u32 v1, v0, 2, 0
	ds_read_b32 v2, v1 offset:36912
	v_add_u32_e32 v0, s62, v0
	v_ashrrev_i32_e32 v1, 31, v0
	v_lshlrev_b64 v[0:1], 2, v[0:1]
	v_mov_b32_e32 v3, s53
	v_add_co_u32_e32 v0, vcc, s52, v0
	v_addc_co_u32_e32 v1, vcc, v3, v1, vcc
	s_waitcnt lgkmcnt(0)
	global_store_dword v[0:1], v2, off
.LBB1_24:
	s_endpgm
	.section	.rodata,"a",@progbits
	.p2align	6, 0x0
	.amdhsa_kernel _Z26selective_scan_vllm_kernelI18SSMFwdKernelTraitsILi128ELi4ELi8ELb1ELb1ELb1EEEv13SSMParamsBase
		.amdhsa_group_segment_fixed_size 0
		.amdhsa_private_segment_fixed_size 48
		.amdhsa_kernarg_size 144
		.amdhsa_user_sgpr_count 8
		.amdhsa_user_sgpr_private_segment_buffer 1
		.amdhsa_user_sgpr_dispatch_ptr 0
		.amdhsa_user_sgpr_queue_ptr 0
		.amdhsa_user_sgpr_kernarg_segment_ptr 1
		.amdhsa_user_sgpr_dispatch_id 0
		.amdhsa_user_sgpr_flat_scratch_init 1
		.amdhsa_user_sgpr_kernarg_preload_length 0
		.amdhsa_user_sgpr_kernarg_preload_offset 0
		.amdhsa_user_sgpr_private_segment_size 0
		.amdhsa_uses_dynamic_stack 0
		.amdhsa_system_sgpr_private_segment_wavefront_offset 1
		.amdhsa_system_sgpr_workgroup_id_x 1
		.amdhsa_system_sgpr_workgroup_id_y 1
		.amdhsa_system_sgpr_workgroup_id_z 0
		.amdhsa_system_sgpr_workgroup_info 0
		.amdhsa_system_vgpr_workitem_id 0
		.amdhsa_next_free_vgpr 46
		.amdhsa_next_free_sgpr 75
		.amdhsa_accum_offset 48
		.amdhsa_reserve_vcc 1
		.amdhsa_reserve_flat_scratch 0
		.amdhsa_float_round_mode_32 0
		.amdhsa_float_round_mode_16_64 0
		.amdhsa_float_denorm_mode_32 3
		.amdhsa_float_denorm_mode_16_64 3
		.amdhsa_dx10_clamp 1
		.amdhsa_ieee_mode 1
		.amdhsa_fp16_overflow 0
		.amdhsa_tg_split 0
		.amdhsa_exception_fp_ieee_invalid_op 0
		.amdhsa_exception_fp_denorm_src 0
		.amdhsa_exception_fp_ieee_div_zero 0
		.amdhsa_exception_fp_ieee_overflow 0
		.amdhsa_exception_fp_ieee_underflow 0
		.amdhsa_exception_fp_ieee_inexact 0
		.amdhsa_exception_int_div_zero 0
	.end_amdhsa_kernel
	.section	.text._Z26selective_scan_vllm_kernelI18SSMFwdKernelTraitsILi128ELi4ELi8ELb1ELb1ELb1EEEv13SSMParamsBase,"axG",@progbits,_Z26selective_scan_vllm_kernelI18SSMFwdKernelTraitsILi128ELi4ELi8ELb1ELb1ELb1EEEv13SSMParamsBase,comdat
.Lfunc_end1:
	.size	_Z26selective_scan_vllm_kernelI18SSMFwdKernelTraitsILi128ELi4ELi8ELb1ELb1ELb1EEEv13SSMParamsBase, .Lfunc_end1-_Z26selective_scan_vllm_kernelI18SSMFwdKernelTraitsILi128ELi4ELi8ELb1ELb1ELb1EEEv13SSMParamsBase
                                        ; -- End function
	.section	.AMDGPU.csdata,"",@progbits
; Kernel info:
; codeLenInByte = 3324
; NumSgprs: 79
; NumVgprs: 46
; NumAgprs: 0
; TotalNumVgprs: 46
; ScratchSize: 48
; MemoryBound: 0
; FloatMode: 240
; IeeeMode: 1
; LDSByteSize: 0 bytes/workgroup (compile time only)
; SGPRBlocks: 9
; VGPRBlocks: 5
; NumSGPRsForWavesPerEU: 79
; NumVGPRsForWavesPerEU: 46
; AccumOffset: 48
; Occupancy: 8
; WaveLimiterHint : 0
; COMPUTE_PGM_RSRC2:SCRATCH_EN: 1
; COMPUTE_PGM_RSRC2:USER_SGPR: 8
; COMPUTE_PGM_RSRC2:TRAP_HANDLER: 0
; COMPUTE_PGM_RSRC2:TGID_X_EN: 1
; COMPUTE_PGM_RSRC2:TGID_Y_EN: 1
; COMPUTE_PGM_RSRC2:TGID_Z_EN: 0
; COMPUTE_PGM_RSRC2:TIDIG_COMP_CNT: 0
; COMPUTE_PGM_RSRC3_GFX90A:ACCUM_OFFSET: 11
; COMPUTE_PGM_RSRC3_GFX90A:TG_SPLIT: 0
	.section	.text._Z26selective_scan_vllm_kernelI18SSMFwdKernelTraitsILi128ELi4ELi8ELb1ELb1ELb0EEEv13SSMParamsBase,"axG",@progbits,_Z26selective_scan_vllm_kernelI18SSMFwdKernelTraitsILi128ELi4ELi8ELb1ELb1ELb0EEEv13SSMParamsBase,comdat
	.protected	_Z26selective_scan_vllm_kernelI18SSMFwdKernelTraitsILi128ELi4ELi8ELb1ELb1ELb0EEEv13SSMParamsBase ; -- Begin function _Z26selective_scan_vllm_kernelI18SSMFwdKernelTraitsILi128ELi4ELi8ELb1ELb1ELb0EEEv13SSMParamsBase
	.globl	_Z26selective_scan_vllm_kernelI18SSMFwdKernelTraitsILi128ELi4ELi8ELb1ELb1ELb0EEEv13SSMParamsBase
	.p2align	8
	.type	_Z26selective_scan_vllm_kernelI18SSMFwdKernelTraitsILi128ELi4ELi8ELb1ELb1ELb0EEEv13SSMParamsBase,@function
_Z26selective_scan_vllm_kernelI18SSMFwdKernelTraitsILi128ELi4ELi8ELb1ELb1ELb0EEEv13SSMParamsBase: ; @_Z26selective_scan_vllm_kernelI18SSMFwdKernelTraitsILi128ELi4ELi8ELb1ELb1ELb0EEEv13SSMParamsBase
; %bb.0:
	s_load_dwordx2 s[16:17], s[4:5], 0x4
	s_add_u32 s0, s0, s10
	s_addc_u32 s1, s1, 0
	s_load_dwordx16 s[44:59], s[4:5], 0x18
	s_load_dwordx2 s[36:37], s[4:5], 0x88
	s_load_dwordx4 s[68:71], s[4:5], 0x78
	s_abs_i32 s14, s8
	s_waitcnt lgkmcnt(0)
	s_abs_i32 s13, s16
	v_cvt_f32_u32_e32 v1, s13
	s_sub_i32 s6, 0, s13
	s_ashr_i32 s15, s8, 31
	s_lshl_b32 s12, s9, 9
	v_rcp_iflag_f32_e32 v1, v1
	v_cmp_ne_u32_e64 s[42:43], 0, v0
	s_ashr_i32 s18, s16, 31
	v_mul_f32_e32 v1, 0x4f7ffffe, v1
	v_cvt_u32_f32_e32 v1, v1
	v_readfirstlane_b32 s7, v1
	s_mul_i32 s6, s6, s7
	s_mul_hi_u32 s6, s7, s6
	s_add_i32 s7, s7, s6
	s_mul_hi_u32 s19, s14, s7
	v_cmp_eq_u32_e64 s[6:7], 0, v0
	s_and_saveexec_b64 s[10:11], s[6:7]
	s_cbranch_execz .LBB2_2
; %bb.1:
	s_add_i32 s20, s12, 0x200
	s_min_i32 s20, s20, s17
	s_not_b32 s21, s12
	s_add_i32 s20, s20, s21
	s_ashr_i32 s21, s20, 31
	s_lshr_b32 s21, s21, 30
	s_add_i32 s21, s20, s21
	s_ashr_i32 s22, s21, 2
	s_and_b32 s21, s21, -4
	s_sub_i32 s20, s20, s21
	v_mov_b32_e32 v2, s22
	v_mov_b32_e32 v3, s20
	;; [unrolled: 1-line block ×3, first 2 shown]
	ds_write_b64 v1, v[2:3] offset:36944
.LBB2_2:
	s_or_b64 exec, exec, s[10:11]
	s_mul_i32 s11, s19, s13
	s_sub_i32 s11, s14, s11
	s_xor_b32 s10, s15, s18
	s_add_i32 s14, s19, 1
	s_sub_i32 s15, s11, s13
	s_cmp_ge_u32 s11, s13
	s_cselect_b32 s14, s14, s19
	s_cselect_b32 s11, s15, s11
	s_add_i32 s15, s14, 1
	s_cmp_ge_u32 s11, s13
	s_cselect_b32 s11, s15, s14
	s_xor_b32 s11, s11, s10
	s_sub_i32 s40, s11, s10
	s_mul_i32 s10, s40, s16
	s_sub_i32 s38, s8, s10
	s_mul_i32 s10, s40, s68
	s_ashr_i32 s11, s10, 31
	s_lshl_b64 s[72:73], s[10:11], 2
	s_add_u32 s13, s44, s72
	s_mul_i32 s10, s38, s69
	s_addc_u32 s14, s45, s73
	s_ashr_i32 s11, s10, 31
	s_lshl_b64 s[68:69], s[10:11], 2
	v_mov_b32_e32 v5, 0
	s_add_u32 s16, s13, s68
	s_waitcnt lgkmcnt(0)
	s_barrier
	ds_read_b64 v[8:9], v5 offset:36944
	s_addc_u32 s25, s14, s69
	s_ashr_i32 s39, s38, 31
	v_lshlrev_b32_e32 v1, 2, v0
	s_lshl_b64 s[18:19], s[38:39], 2
	v_add_u32_e32 v2, s12, v1
	s_add_u32 s10, s56, s18
	s_addc_u32 s11, s57, s19
	v_cmp_gt_i32_e64 s[44:45], s17, v2
	v_ashrrev_i32_e32 v3, 31, v2
	v_mov_b32_e32 v4, 0
	s_and_saveexec_b64 s[12:13], s[44:45]
	s_cbranch_execz .LBB2_4
; %bb.3:
	v_lshlrev_b64 v[6:7], 2, v[2:3]
	v_mov_b32_e32 v4, s25
	v_add_co_u32_e32 v6, vcc, s16, v6
	v_addc_co_u32_e32 v7, vcc, v4, v7, vcc
	global_load_dword v4, v[6:7], off
.LBB2_4:
	s_or_b64 exec, exec, s[12:13]
	s_load_dword s22, s[10:11], 0x0
	s_add_u32 s10, s46, s72
	s_addc_u32 s11, s47, s73
	s_add_u32 s23, s10, s68
	s_addc_u32 s24, s11, s69
	s_and_saveexec_b64 s[10:11], s[44:45]
	s_cbranch_execz .LBB2_6
; %bb.5:
	v_lshlrev_b64 v[6:7], 2, v[2:3]
	v_mov_b32_e32 v5, s24
	v_add_co_u32_e32 v6, vcc, s23, v6
	v_addc_co_u32_e32 v7, vcc, v5, v7, vcc
	global_load_dword v5, v[6:7], off
.LBB2_6:
	s_or_b64 exec, exec, s[10:11]
	s_waitcnt vmcnt(0) lgkmcnt(0)
	v_add_f32_e32 v6, s22, v5
	v_mul_f32_e32 v5, 0x3fb8aa3b, v6
	v_exp_f32_e32 v5, v5
	s_mov_b32 s10, 0x800000
	v_mov_b32_e32 v7, 0x4f800000
	s_mov_b32 s11, 0x7f800000
	v_add_f32_e32 v5, 1.0, v5
	v_cmp_gt_f32_e32 vcc, s10, v5
	v_cndmask_b32_e32 v7, 1.0, v7, vcc
	v_mul_f32_e32 v5, v5, v7
	v_log_f32_e32 v5, v5
	s_mov_b32 s10, 0x3f317217
	v_mov_b32_e32 v10, 0x41b17218
	s_mov_b32 s12, 0x41a00000
	v_mul_f32_e32 v7, 0x3f317217, v5
	v_fma_f32 v7, v5, s10, -v7
	v_fmac_f32_e32 v7, 0x3377d1cf, v5
	v_fmac_f32_e32 v7, 0x3f317217, v5
	v_cmp_lt_f32_e64 s[10:11], |v5|, s11
	v_cndmask_b32_e64 v7, v5, v7, s[10:11]
	v_cndmask_b32_e32 v10, 0, v10, vcc
	v_sub_f32_e32 v7, v7, v10
	v_cmp_lt_f32_e32 vcc, s12, v6
	v_lshl_add_u32 v30, v1, 2, 0
	v_cndmask_b32_e32 v6, v7, v6, vcc
	v_add_u32_e32 v7, 16, v30
	ds_write2st64_b32 v7, v4, v6 offset1:8
	v_or_b32_e32 v4, 1, v2
	v_mov_b32_e32 v5, 0
	v_cmp_gt_i32_e64 s[10:11], s17, v4
	v_mov_b32_e32 v4, 0
	s_and_saveexec_b64 s[12:13], s[10:11]
	s_cbranch_execz .LBB2_8
; %bb.7:
	v_lshlrev_b64 v[6:7], 2, v[2:3]
	v_mov_b32_e32 v4, s25
	v_add_co_u32_e32 v6, vcc, s16, v6
	v_addc_co_u32_e32 v7, vcc, v4, v7, vcc
	global_load_dword v4, v[6:7], off offset:4
.LBB2_8:
	s_or_b64 exec, exec, s[12:13]
	s_and_saveexec_b64 s[12:13], s[10:11]
	s_cbranch_execz .LBB2_10
; %bb.9:
	v_lshlrev_b64 v[6:7], 2, v[2:3]
	v_mov_b32_e32 v5, s24
	v_add_co_u32_e32 v6, vcc, s23, v6
	v_addc_co_u32_e32 v7, vcc, v5, v7, vcc
	global_load_dword v5, v[6:7], off offset:4
.LBB2_10:
	s_or_b64 exec, exec, s[12:13]
	s_waitcnt vmcnt(0)
	v_add_f32_e32 v6, s22, v5
	v_mul_f32_e32 v5, 0x3fb8aa3b, v6
	v_exp_f32_e32 v5, v5
	s_mov_b32 s12, 0x800000
	v_mov_b32_e32 v7, 0x4f800000
	s_mov_b32 s13, 0x7f800000
	v_add_f32_e32 v5, 1.0, v5
	v_cmp_gt_f32_e32 vcc, s12, v5
	v_cndmask_b32_e32 v7, 1.0, v7, vcc
	v_mul_f32_e32 v5, v5, v7
	v_log_f32_e32 v5, v5
	s_mov_b32 s12, 0x3f317217
	v_mov_b32_e32 v10, 0x41b17218
	s_mov_b32 s14, 0x41a00000
	v_mul_f32_e32 v7, 0x3f317217, v5
	v_fma_f32 v7, v5, s12, -v7
	v_fmac_f32_e32 v7, 0x3377d1cf, v5
	v_fmac_f32_e32 v7, 0x3f317217, v5
	v_cmp_lt_f32_e64 s[12:13], |v5|, s13
	v_cndmask_b32_e64 v7, v5, v7, s[12:13]
	v_cndmask_b32_e32 v10, 0, v10, vcc
	v_lshlrev_b32_e32 v1, 2, v1
	s_add_i32 s12, 0, 0x810
	v_sub_f32_e32 v7, v7, v10
	v_cmp_lt_f32_e32 vcc, s14, v6
	v_add3_u32 v31, 0, 16, v1
	v_add_u32_e32 v32, s12, v1
	v_or_b32_e32 v1, 2, v2
	v_mov_b32_e32 v5, 0
	v_cndmask_b32_e32 v6, v7, v6, vcc
	ds_write_b32 v31, v4 offset:4
	v_cmp_gt_i32_e64 s[12:13], s17, v1
	v_mov_b32_e32 v4, 0
	ds_write_b32 v32, v6 offset:4
	s_and_saveexec_b64 s[14:15], s[12:13]
	s_cbranch_execz .LBB2_12
; %bb.11:
	v_lshlrev_b64 v[6:7], 2, v[2:3]
	v_mov_b32_e32 v1, s25
	v_add_co_u32_e32 v6, vcc, s16, v6
	v_addc_co_u32_e32 v7, vcc, v1, v7, vcc
	global_load_dword v4, v[6:7], off offset:8
.LBB2_12:
	s_or_b64 exec, exec, s[14:15]
	s_and_saveexec_b64 s[14:15], s[12:13]
	s_cbranch_execz .LBB2_14
; %bb.13:
	v_lshlrev_b64 v[6:7], 2, v[2:3]
	v_mov_b32_e32 v1, s24
	v_add_co_u32_e32 v6, vcc, s23, v6
	v_addc_co_u32_e32 v7, vcc, v1, v7, vcc
	global_load_dword v5, v[6:7], off offset:8
.LBB2_14:
	s_or_b64 exec, exec, s[14:15]
	s_waitcnt vmcnt(0)
	v_add_f32_e32 v5, s22, v5
	v_mul_f32_e32 v1, 0x3fb8aa3b, v5
	v_exp_f32_e32 v1, v1
	s_mov_b32 s14, 0x800000
	v_mov_b32_e32 v6, 0x4f800000
	s_mov_b32 s15, 0x7f800000
	v_add_f32_e32 v1, 1.0, v1
	v_cmp_gt_f32_e32 vcc, s14, v1
	v_cndmask_b32_e32 v6, 1.0, v6, vcc
	v_mul_f32_e32 v1, v1, v6
	v_log_f32_e32 v1, v1
	s_mov_b32 s14, 0x3f317217
	v_mov_b32_e32 v7, 0x41b17218
	s_mov_b32 s20, 0x41a00000
	v_mul_f32_e32 v6, 0x3f317217, v1
	v_fma_f32 v6, v1, s14, -v6
	v_fmac_f32_e32 v6, 0x3377d1cf, v1
	v_fmac_f32_e32 v6, 0x3f317217, v1
	v_cmp_lt_f32_e64 s[14:15], |v1|, s15
	v_cndmask_b32_e64 v6, v1, v6, s[14:15]
	v_cndmask_b32_e32 v7, 0, v7, vcc
	v_sub_f32_e32 v6, v6, v7
	v_cmp_lt_f32_e32 vcc, s20, v5
	v_cndmask_b32_e32 v5, v6, v5, vcc
	ds_write_b32 v31, v4 offset:8
	ds_write_b32 v32, v5 offset:8
	v_or_b32_e32 v4, 3, v2
	v_mov_b32_e32 v1, 0
	v_cmp_le_i32_e32 vcc, s17, v4
	v_cmp_gt_i32_e64 s[14:15], s17, v4
	s_and_saveexec_b64 s[20:21], s[14:15]
	s_cbranch_execz .LBB2_16
; %bb.15:
	v_lshlrev_b64 v[4:5], 2, v[2:3]
	v_mov_b32_e32 v1, s25
	v_add_co_u32_e64 v4, s[16:17], s16, v4
	v_addc_co_u32_e64 v5, s[16:17], v1, v5, s[16:17]
	global_load_dword v1, v[4:5], off offset:12
.LBB2_16:
	s_or_b64 exec, exec, s[20:21]
                                        ; implicit-def: $sgpr20
	s_and_saveexec_b64 s[16:17], vcc
	s_xor_b64 s[16:17], exec, s[16:17]
; %bb.17:
	s_mov_b32 s20, 0
; %bb.18:
	s_or_saveexec_b64 s[16:17], s[16:17]
	s_load_dword s33, s[4:5], 0x10
	s_load_dwordx8 s[60:67], s[4:5], 0x58
	v_mov_b32_e32 v4, s20
	s_xor_b64 exec, exec, s[16:17]
	s_cbranch_execz .LBB2_20
; %bb.19:
	v_lshlrev_b64 v[4:5], 2, v[2:3]
	v_mov_b32_e32 v6, s24
	v_add_co_u32_e32 v4, vcc, s23, v4
	v_addc_co_u32_e32 v5, vcc, v6, v5, vcc
	global_load_dword v4, v[4:5], off offset:12
.LBB2_20:
	s_or_b64 exec, exec, s[16:17]
	s_waitcnt vmcnt(0)
	v_add_f32_e32 v4, s22, v4
	v_mul_f32_e32 v5, 0x3fb8aa3b, v4
	v_exp_f32_e32 v5, v5
	s_mov_b32 s4, 0x800000
	v_mov_b32_e32 v6, 0x4f800000
	s_mov_b32 s5, 0x7f800000
	v_add_f32_e32 v5, 1.0, v5
	v_cmp_gt_f32_e32 vcc, s4, v5
	v_cndmask_b32_e32 v6, 1.0, v6, vcc
	v_mul_f32_e32 v5, v5, v6
	v_log_f32_e32 v5, v5
	s_mov_b32 s4, 0x3f317217
	s_mov_b32 s16, 0x41a00000
	s_mul_i32 s77, s40, s70
	v_mul_f32_e32 v6, 0x3f317217, v5
	v_fma_f32 v6, v5, s4, -v6
	v_fmac_f32_e32 v6, 0x3377d1cf, v5
	v_fmac_f32_e32 v6, 0x3f317217, v5
	v_cmp_lt_f32_e64 s[4:5], |v5|, s5
	v_cndmask_b32_e64 v5, v5, v6, s[4:5]
	v_mov_b32_e32 v6, 0x41b17218
	v_cndmask_b32_e32 v6, 0, v6, vcc
	v_sub_f32_e32 v5, v5, v6
	v_cmp_lt_f32_e32 vcc, s16, v4
	s_add_u32 s4, s54, s18
	v_cndmask_b32_e32 v4, v5, v4, vcc
	s_addc_u32 s5, s55, s19
	ds_write_b32 v31, v1 offset:12
	ds_write_b32 v32, v4 offset:12
	s_waitcnt lgkmcnt(0)
	s_barrier
	s_load_dword s4, s[4:5], 0x0
	ds_read2_b32 v[4:5], v31 offset0:2 offset1:3
	ds_read2_b32 v[6:7], v30 offset0:4 offset1:5
	s_lshl_b32 s46, s38, 3
	s_cmp_lg_u32 s9, 0
	s_mul_i32 s40, s40, s36
	s_mul_i32 s70, s38, s37
	s_waitcnt lgkmcnt(0)
	v_pk_mul_f32 v[4:5], s[4:5], v[4:5] op_sel_hi:[0,1]
	v_pk_mul_f32 v[6:7], s[4:5], v[6:7] op_sel_hi:[0,1]
	s_cselect_b64 s[4:5], -1, 0
	s_add_i32 s70, s70, s40
	s_ashr_i32 s78, s9, 31
	s_add_u32 s79, s64, -4
	s_addc_u32 s80, s65, -1
	s_add_u32 s81, s66, -4
	s_addc_u32 s82, s67, -1
	s_add_u32 s83, s50, 4
	s_addc_u32 s84, s51, 0
	s_add_u32 s85, s52, 4
	v_mbcnt_lo_u32_b32 v1, -1, 0
	s_addc_u32 s86, s53, 0
	v_mbcnt_hi_u32_b32 v1, -1, v1
	s_add_u32 s87, s50, 8
	v_and_b32_e32 v10, 15, v1
	s_addc_u32 s88, s51, 0
	v_cmp_eq_u32_e64 s[16:17], 0, v10
	v_cmp_lt_u32_e64 s[18:19], 1, v10
	v_cmp_lt_u32_e64 s[20:21], 3, v10
	;; [unrolled: 1-line block ×3, first 2 shown]
	v_and_b32_e32 v10, 16, v1
	s_add_u32 s89, s52, 8
	v_cmp_eq_u32_e64 s[24:25], 0, v10
	v_or_b32_e32 v10, 63, v0
	s_addc_u32 s90, s53, 0
	v_cmp_eq_u32_e64 s[28:29], v10, v0
	v_add_u32_e32 v10, -1, v1
	v_and_b32_e32 v11, 64, v1
	s_add_u32 s91, s50, 12
	v_cmp_lt_i32_e32 vcc, v10, v11
	s_addc_u32 s92, s51, 0
	v_cndmask_b32_e32 v10, v10, v1, vcc
	s_add_u32 s93, s52, 12
	v_lshlrev_b32_e32 v33, 2, v10
	v_lshrrev_b32_e32 v10, 3, v0
	s_addc_u32 s94, s53, 0
	s_mul_i32 s8, s8, s33
	s_ashr_i32 s47, s46, 31
	v_and_b32_e32 v10, 8, v10
	s_lshl_b32 s8, s8, 3
	s_lshl_b64 s[36:37], s[46:47], 2
	v_lshlrev_b32_e32 v9, 3, v9
	v_add_u32_e32 v34, 0, v10
	v_and_b32_e32 v10, 1, v1
	s_add_u32 s46, s48, s36
	v_add_u32_e32 v37, 0, v9
	v_lshl_add_u32 v9, v0, 4, 0
	s_mov_b32 s76, 0
	v_cmp_lt_u32_e64 s[26:27], 31, v1
	v_cmp_gt_u32_e64 s[30:31], 2, v0
	v_cmp_lt_u32_e64 s[34:35], 63, v0
	v_lshl_add_u32 v35, v0, 3, 0
	s_addc_u32 s47, s49, s37
	v_cmp_eq_u32_e64 s[36:37], 0, v10
	v_add_u32_e32 v36, -8, v34
	v_add_u32_e32 v38, 0x1010, v9
	v_mov_b32_e32 v39, 0
	v_cmp_eq_u32_e64 s[38:39], 0, v1
	v_cmp_eq_u32_e64 s[40:41], v0, v8
	s_mov_b32 s48, s70
	s_branch .LBB2_22
.LBB2_21:                               ;   in Loop: Header=BB2_22 Depth=1
	s_or_b64 exec, exec, s[54:55]
	s_add_i32 s76, s76, 4
	s_add_i32 s77, s77, s71
	;; [unrolled: 1-line block ×4, first 2 shown]
	v_mov_b32_e32 v8, v9
	s_add_u32 s46, s46, 4
	s_waitcnt vmcnt(4)
	v_pk_fma_f32 v[14:15], v[8:9], v[14:15], v[18:19] op_sel_hi:[0,1,1]
	s_waitcnt vmcnt(0)
	v_pk_fma_f32 v[8:9], v[8:9], v[10:11], v[12:13] op_sel_hi:[0,1,1]
	s_addc_u32 s47, s47, 0
	s_waitcnt lgkmcnt(1)
	v_pk_fma_f32 v[6:7], v[20:21], v[14:15], v[6:7]
	s_waitcnt lgkmcnt(0)
	v_pk_fma_f32 v[4:5], v[16:17], v[8:9], v[4:5]
	s_cmp_eq_u32 s76, 32
	v_add_u32_e32 v38, 0x800, v38
	s_barrier
	s_cbranch_scc1 .LBB2_56
.LBB2_22:                               ; =>This Inner Loop Header: Depth=1
	s_and_saveexec_b64 s[54:55], s[6:7]
	s_cbranch_execz .LBB2_27
; %bb.23:                               ;   in Loop: Header=BB2_22 Depth=1
	s_and_b64 vcc, exec, s[4:5]
	s_cbranch_vccz .LBB2_55
; %bb.24:                               ;   in Loop: Header=BB2_22 Depth=1
	s_ashr_i32 s49, s8, 31
	s_add_u32 s56, s9, s8
	s_addc_u32 s57, s78, s49
	s_lshl_b64 s[56:57], s[56:57], 2
	s_add_u32 s74, s79, s56
	s_addc_u32 s75, s80, s57
	global_load_dword v1, v39, s[74:75]
	s_add_u32 s56, s81, s56
	s_addc_u32 s57, s82, s57
	s_cbranch_execnz .LBB2_26
.LBB2_25:                               ;   in Loop: Header=BB2_22 Depth=1
	s_ashr_i32 s49, s48, 31
	s_lshl_b64 s[56:57], s[48:49], 2
	s_add_u32 s56, s60, s56
	s_addc_u32 s57, s61, s57
	s_waitcnt vmcnt(0)
	v_mov_b32_e32 v1, 1.0
.LBB2_26:                               ;   in Loop: Header=BB2_22 Depth=1
	global_load_dword v8, v39, s[56:57]
	s_add_i32 s49, s76, 0
	v_mov_b32_e32 v9, s49
	v_add_u32_e32 v9, 0x9000, v9
	s_waitcnt vmcnt(0)
	ds_write2_b32 v9, v1, v8 offset0:4 offset1:12
.LBB2_27:                               ;   in Loop: Header=BB2_22 Depth=1
	s_or_b64 exec, exec, s[54:55]
	v_add_u32_e32 v8, s77, v2
	v_mov_b32_e32 v1, 0
	v_ashrrev_i32_e32 v9, 31, v8
	v_mov_b32_e32 v10, 0
	s_and_saveexec_b64 s[54:55], s[44:45]
	s_cbranch_execz .LBB2_29
; %bb.28:                               ;   in Loop: Header=BB2_22 Depth=1
	v_lshlrev_b64 v[10:11], 2, v[8:9]
	v_mov_b32_e32 v12, s51
	v_add_co_u32_e32 v10, vcc, s50, v10
	v_addc_co_u32_e32 v11, vcc, v12, v11, vcc
	global_load_dword v10, v[10:11], off
.LBB2_29:                               ;   in Loop: Header=BB2_22 Depth=1
	s_or_b64 exec, exec, s[54:55]
	s_waitcnt vmcnt(0)
	ds_write_b32 v38, v10
	s_and_saveexec_b64 s[54:55], s[44:45]
	s_cbranch_execz .LBB2_31
; %bb.30:                               ;   in Loop: Header=BB2_22 Depth=1
	v_lshlrev_b64 v[8:9], 2, v[8:9]
	v_mov_b32_e32 v1, s53
	v_add_co_u32_e32 v8, vcc, s52, v8
	v_addc_co_u32_e32 v9, vcc, v1, v9, vcc
	global_load_dword v1, v[8:9], off
.LBB2_31:                               ;   in Loop: Header=BB2_22 Depth=1
	s_or_b64 exec, exec, s[54:55]
	s_waitcnt vmcnt(0)
	ds_write_b32 v38, v1 offset:16384
	v_mov_b32_e32 v1, 0
	v_mov_b32_e32 v8, 0
	s_and_saveexec_b64 s[54:55], s[10:11]
	s_cbranch_execz .LBB2_33
; %bb.32:                               ;   in Loop: Header=BB2_22 Depth=1
	s_ashr_i32 s49, s77, 31
	v_mov_b32_e32 v9, s49
	v_add_co_u32_e32 v8, vcc, s77, v2
	v_addc_co_u32_e32 v9, vcc, v9, v3, vcc
	v_lshlrev_b64 v[8:9], 2, v[8:9]
	v_mov_b32_e32 v10, s84
	v_add_co_u32_e32 v8, vcc, s83, v8
	v_addc_co_u32_e32 v9, vcc, v10, v9, vcc
	global_load_dword v8, v[8:9], off
.LBB2_33:                               ;   in Loop: Header=BB2_22 Depth=1
	s_or_b64 exec, exec, s[54:55]
	s_waitcnt vmcnt(0)
	ds_write_b32 v38, v8 offset:4
	s_and_saveexec_b64 s[54:55], s[10:11]
	s_cbranch_execz .LBB2_35
; %bb.34:                               ;   in Loop: Header=BB2_22 Depth=1
	s_ashr_i32 s49, s77, 31
	v_mov_b32_e32 v1, s49
	v_add_co_u32_e32 v8, vcc, s77, v2
	v_addc_co_u32_e32 v9, vcc, v1, v3, vcc
	v_lshlrev_b64 v[8:9], 2, v[8:9]
	v_mov_b32_e32 v1, s86
	v_add_co_u32_e32 v8, vcc, s85, v8
	v_addc_co_u32_e32 v9, vcc, v1, v9, vcc
	global_load_dword v1, v[8:9], off
.LBB2_35:                               ;   in Loop: Header=BB2_22 Depth=1
	s_or_b64 exec, exec, s[54:55]
	s_waitcnt vmcnt(0)
	ds_write_b32 v38, v1 offset:16388
	v_mov_b32_e32 v1, 0
	v_mov_b32_e32 v8, 0
	s_and_saveexec_b64 s[54:55], s[12:13]
	s_cbranch_execz .LBB2_37
; %bb.36:                               ;   in Loop: Header=BB2_22 Depth=1
	s_ashr_i32 s49, s77, 31
	v_mov_b32_e32 v9, s49
	v_add_co_u32_e32 v8, vcc, s77, v2
	v_addc_co_u32_e32 v9, vcc, v9, v3, vcc
	v_lshlrev_b64 v[8:9], 2, v[8:9]
	v_mov_b32_e32 v10, s88
	v_add_co_u32_e32 v8, vcc, s87, v8
	v_addc_co_u32_e32 v9, vcc, v10, v9, vcc
	global_load_dword v8, v[8:9], off
.LBB2_37:                               ;   in Loop: Header=BB2_22 Depth=1
	s_or_b64 exec, exec, s[54:55]
	s_waitcnt vmcnt(0)
	ds_write_b32 v38, v8 offset:8
	s_and_saveexec_b64 s[54:55], s[12:13]
	s_cbranch_execz .LBB2_39
; %bb.38:                               ;   in Loop: Header=BB2_22 Depth=1
	s_ashr_i32 s49, s77, 31
	v_mov_b32_e32 v1, s49
	v_add_co_u32_e32 v8, vcc, s77, v2
	v_addc_co_u32_e32 v9, vcc, v1, v3, vcc
	v_lshlrev_b64 v[8:9], 2, v[8:9]
	v_mov_b32_e32 v1, s90
	v_add_co_u32_e32 v8, vcc, s89, v8
	v_addc_co_u32_e32 v9, vcc, v1, v9, vcc
	global_load_dword v1, v[8:9], off
.LBB2_39:                               ;   in Loop: Header=BB2_22 Depth=1
	;; [unrolled: 34-line block ×3, first 2 shown]
	s_or_b64 exec, exec, s[54:55]
	s_waitcnt vmcnt(0)
	ds_write_b32 v38, v1 offset:16396
	s_waitcnt lgkmcnt(0)
	s_barrier
	global_load_dword v1, v39, s[46:47]
	v_add_u32_e32 v8, 0x810, v30
	ds_read2_b32 v[10:11], v30 offset0:4 offset1:5
	ds_read2_b32 v[12:13], v32 offset0:2 offset1:3
	ds_read2_b32 v[14:15], v31 offset0:2 offset1:3
	ds_read2_b32 v[16:17], v38 offset1:1
	ds_read2_b32 v[18:19], v38 offset0:2 offset1:3
	ds_read2_b32 v[22:23], v8 offset1:1
	s_add_i32 s49, s76, 0
	v_mov_b32_e32 v9, s49
	v_add_u32_e32 v8, 0x9000, v9
	s_waitcnt lgkmcnt(1)
	v_mul_f32_e32 v18, v12, v18
	s_waitcnt lgkmcnt(0)
	v_mul_f32_e32 v17, v23, v17
	v_mul_f32_e32 v16, v22, v16
	;; [unrolled: 1-line block ×7, first 2 shown]
	ds_read2_b32 v[8:9], v8 offset0:4 offset1:12
	s_waitcnt vmcnt(0)
	v_mul_f32_e32 v11, v23, v1
	v_mul_f32_e32 v10, v22, v1
	v_mul_f32_e32 v11, 0x3fb8aa3b, v11
	v_mul_f32_e32 v12, v12, v1
	v_mul_f32_e32 v10, 0x3fb8aa3b, v10
	v_exp_f32_e32 v20, v11
	v_mul_f32_e32 v1, v13, v1
	v_mul_f32_e32 v12, 0x3fb8aa3b, v12
	v_exp_f32_e32 v10, v10
	v_mul_f32_e32 v1, 0x3fb8aa3b, v1
	v_exp_f32_e32 v24, v12
	v_exp_f32_e32 v25, v1
	v_mul_f32_e32 v11, v40, v20
	v_pk_mul_f32 v[12:13], v[10:11], v[20:21]
	v_pk_add_f32 v[14:15], v[10:11], v[20:21]
	v_fma_f32 v17, v15, v24, v41
	v_mov_b32_e32 v16, v12
	v_mov_b32_e32 v18, v25
	;; [unrolled: 1-line block ×3, first 2 shown]
	v_pk_mul_f32 v[14:15], v[16:17], v[24:25]
	v_pk_fma_f32 v[26:27], v[16:17], v[24:25], v[18:19]
	v_pk_mul_f32 v[22:23], v[14:15], v[18:19]
	s_nop 0
	v_mov_b32_dpp v11, v27 row_shr:1 row_mask:0xf bank_mask:0xf
	v_mov_b32_dpp v13, v22 row_shr:1 row_mask:0xf bank_mask:0xf
	v_fma_f32 v11, v22, v11, v27
	v_mul_f32_e32 v13, v22, v13
	v_cndmask_b32_e64 v11, v11, v27, s[16:17]
	v_cndmask_b32_e64 v13, v13, v22, s[16:17]
	s_nop 0
	v_mov_b32_dpp v15, v11 row_shr:2 row_mask:0xf bank_mask:0xf
	v_mov_b32_dpp v16, v13 row_shr:2 row_mask:0xf bank_mask:0xf
	v_fma_f32 v15, v13, v15, v11
	v_mul_f32_e32 v16, v13, v16
	v_cndmask_b32_e64 v11, v11, v15, s[18:19]
	v_cndmask_b32_e64 v13, v13, v16, s[18:19]
	;; [unrolled: 7-line block ×4, first 2 shown]
	s_nop 0
	v_mov_b32_dpp v15, v11 row_bcast:15 row_mask:0xf bank_mask:0xf
	v_mov_b32_dpp v16, v13 row_bcast:15 row_mask:0xf bank_mask:0xf
	v_fma_f32 v15, v13, v15, v11
	v_mul_f32_e32 v16, v13, v16
	v_cndmask_b32_e64 v15, v15, v11, s[24:25]
	v_cndmask_b32_e64 v16, v16, v13, s[24:25]
	s_nop 0
	v_mov_b32_dpp v11, v15 row_bcast:31 row_mask:0xf bank_mask:0xf
	v_mov_b32_dpp v13, v16 row_bcast:31 row_mask:0xf bank_mask:0xf
	v_fma_f32 v18, v16, v11, v15
	v_mul_f32_e32 v23, v16, v13
	v_cndmask_b32_e64 v11, v15, v18, s[26:27]
	v_cndmask_b32_e64 v13, v16, v23, s[26:27]
	s_and_saveexec_b64 s[54:55], s[28:29]
	s_cbranch_execz .LBB2_45
; %bb.44:                               ;   in Loop: Header=BB2_22 Depth=1
	v_cndmask_b32_e64 v15, v15, v18, s[26:27]
	v_cndmask_b32_e64 v16, v16, v23, s[26:27]
	ds_write2_b32 v34, v16, v15 offset1:1
.LBB2_45:                               ;   in Loop: Header=BB2_22 Depth=1
	s_or_b64 exec, exec, s[54:55]
	s_waitcnt lgkmcnt(0)
	s_barrier
	s_and_saveexec_b64 s[54:55], s[30:31]
	s_cbranch_execz .LBB2_47
; %bb.46:                               ;   in Loop: Header=BB2_22 Depth=1
	ds_read2_b32 v[28:29], v35 offset1:1
	s_waitcnt lgkmcnt(0)
	s_nop 0
	v_mov_b32_dpp v15, v28 row_shr:1 row_mask:0xf bank_mask:0xf
	v_mov_b32_dpp v16, v29 row_shr:1 row_mask:0xf bank_mask:0xf
	v_fma_f32 v16, v28, v16, v29
	v_mul_f32_e32 v15, v28, v15
	v_cndmask_b32_e64 v15, v15, v28, s[36:37]
	v_cndmask_b32_e64 v16, v16, v29, s[36:37]
	ds_write2_b32 v35, v15, v16 offset1:1
.LBB2_47:                               ;   in Loop: Header=BB2_22 Depth=1
	s_or_b64 exec, exec, s[54:55]
	s_waitcnt lgkmcnt(0)
	s_barrier
	s_waitcnt lgkmcnt(0)
                                        ; implicit-def: $vgpr28
	s_and_saveexec_b64 s[54:55], s[34:35]
	s_cbranch_execz .LBB2_49
; %bb.48:                               ;   in Loop: Header=BB2_22 Depth=1
	ds_read2_b32 v[28:29], v36 offset1:1
	s_waitcnt lgkmcnt(0)
	v_mul_f32_e32 v15, v13, v28
	v_fmac_f32_e32 v11, v13, v29
	v_mov_b32_e32 v13, v15
.LBB2_49:                               ;   in Loop: Header=BB2_22 Depth=1
	s_or_b64 exec, exec, s[54:55]
	ds_bpermute_b32 v13, v33, v13
	ds_bpermute_b32 v11, v33, v11
	s_and_saveexec_b64 s[54:55], s[42:43]
	s_xor_b64 s[54:55], exec, s[54:55]
	s_cbranch_execz .LBB2_51
; %bb.50:                               ;   in Loop: Header=BB2_22 Depth=1
	s_waitcnt lgkmcnt(1)
	v_cndmask_b32_e64 v1, v13, v28, s[38:39]
	v_mul_f32_e32 v22, v10, v1
	s_waitcnt lgkmcnt(0)
	v_cndmask_b32_e64 v1, v11, v29, s[38:39]
	v_fmac_f32_e32 v40, v10, v1
	v_fmac_f32_e32 v21, v40, v20
	v_mov_b32_e32 v23, v21
	v_mov_b32_e32 v10, v20
	;; [unrolled: 1-line block ×3, first 2 shown]
	v_pk_mul_f32 v[12:13], v[22:23], v[10:11]
	v_mul_f32_e32 v14, v12, v24
	v_add_f32_e32 v17, v13, v41
	v_mul_f32_e32 v18, v14, v25
	v_fmac_f32_e32 v19, v17, v25
	v_mov_b32_e32 v23, v40
	;;#ASMSTART
	;;#ASMEND
	v_mov_b32_e32 v1, v21
	v_pk_mov_b32 v[10:11], v[22:23], v[22:23] op_sel:[0,1]
	v_pk_mov_b32 v[22:23], v[18:19], v[18:19] op_sel:[0,1]
                                        ; implicit-def: $vgpr26_vgpr27
                                        ; implicit-def: $vgpr40
.LBB2_51:                               ;   in Loop: Header=BB2_22 Depth=1
	s_andn2_saveexec_b64 s[54:55], s[54:55]
	s_cbranch_execz .LBB2_53
; %bb.52:                               ;   in Loop: Header=BB2_22 Depth=1
	v_mov_b32_e32 v23, v27
	s_waitcnt lgkmcnt(0)
	v_mov_b32_e32 v11, v40
.LBB2_53:                               ;   in Loop: Header=BB2_22 Depth=1
	s_or_b64 exec, exec, s[54:55]
	s_waitcnt lgkmcnt(0)
	buffer_store_dword v11, off, s[0:3], 0 offset:4
	buffer_store_dword v10, off, s[0:3], 0
	buffer_store_dword v1, off, s[0:3], 0 offset:12
	buffer_store_dword v12, off, s[0:3], 0 offset:8
	;; [unrolled: 1-line block ×6, first 2 shown]
	s_barrier
	buffer_load_dword v14, off, s[0:3], 0
	buffer_load_dword v18, off, s[0:3], 0 offset:4
	buffer_load_dword v15, off, s[0:3], 0 offset:8
	;; [unrolled: 1-line block ×7, first 2 shown]
	v_add_u32_e32 v1, 0x4000, v38
	v_add_u32_e32 v16, 0x4008, v38
	ds_read2_b32 v[20:21], v1 offset1:1
	ds_read2_b32 v[16:17], v16 offset1:1
	s_and_saveexec_b64 s[54:55], s[40:41]
	s_cbranch_execz .LBB2_21
; %bb.54:                               ;   in Loop: Header=BB2_22 Depth=1
	buffer_load_dword v1, v37, s[0:3], 0 offen
	buffer_load_dword v22, v37, s[0:3], 0 offen offset:4
	s_add_i32 s56, s9, s8
	s_ashr_i32 s57, s56, 31
	s_lshl_b64 s[56:57], s[56:57], 2
	s_add_u32 s74, s64, s56
	v_mov_b32_e32 v23, s49
	s_addc_u32 s75, s65, s57
	v_add_u32_e32 v23, 0x9000, v23
	s_add_u32 s56, s66, s56
	s_addc_u32 s57, s67, s57
	s_waitcnt vmcnt(1)
	v_mul_f32_e32 v8, v8, v1
	s_waitcnt vmcnt(0)
	v_fmac_f32_e32 v22, v9, v1
	global_store_dword v39, v8, s[74:75]
	global_store_dword v39, v22, s[56:57]
	ds_write2_b32 v23, v8, v22 offset0:4 offset1:12
	s_branch .LBB2_21
.LBB2_55:                               ;   in Loop: Header=BB2_22 Depth=1
                                        ; implicit-def: $sgpr56_sgpr57
                                        ; implicit-def: $vgpr1
	s_branch .LBB2_25
.LBB2_56:
	s_add_u32 s4, s58, s72
	s_addc_u32 s5, s59, s73
	s_add_u32 s8, s4, s68
	s_addc_u32 s16, s5, s69
	;; [unrolled: 2-line block ×4, first 2 shown]
	v_lshlrev_b64 v[2:3], 2, v[2:3]
	s_and_saveexec_b64 s[4:5], s[44:45]
	s_cbranch_execnz .LBB2_64
; %bb.57:
	s_or_b64 exec, exec, s[4:5]
	s_and_saveexec_b64 s[4:5], s[10:11]
	s_cbranch_execnz .LBB2_65
.LBB2_58:
	s_or_b64 exec, exec, s[4:5]
	s_and_saveexec_b64 s[4:5], s[12:13]
	s_cbranch_execnz .LBB2_66
.LBB2_59:
	s_or_b64 exec, exec, s[4:5]
	s_and_saveexec_b64 s[4:5], s[14:15]
	s_cbranch_execz .LBB2_61
.LBB2_60:
	v_mov_b32_e32 v1, s16
	v_add_co_u32_e32 v6, vcc, s8, v2
	v_addc_co_u32_e32 v7, vcc, v1, v3, vcc
	global_load_dword v1, v[6:7], off offset:12
	v_mov_b32_e32 v8, s7
	s_waitcnt vmcnt(0)
	v_mul_f32_e32 v4, 0xbfb8aa3b, v1
	v_exp_f32_e32 v4, v4
	v_add_f32_e32 v4, 1.0, v4
	v_div_scale_f32 v6, s[10:11], v4, v4, v1
	v_rcp_f32_e32 v7, v6
	v_div_scale_f32 v9, vcc, v1, v4, v1
	v_fma_f32 v10, -v6, v7, 1.0
	v_fmac_f32_e32 v7, v10, v7
	v_mul_f32_e32 v10, v9, v7
	v_fma_f32 v11, -v6, v10, v9
	v_fmac_f32_e32 v10, v11, v7
	v_fma_f32 v6, -v6, v10, v9
	v_div_fmas_f32 v6, v6, v7, v10
	v_div_fixup_f32 v1, v6, v4, v1
	v_add_co_u32_e32 v2, vcc, s6, v2
	v_mul_f32_e32 v1, v5, v1
	v_addc_co_u32_e32 v3, vcc, v8, v3, vcc
	global_store_dword v[2:3], v1, off offset:12
.LBB2_61:
	s_or_b64 exec, exec, s[4:5]
	s_add_i32 s33, s33, -1
	s_cmp_eq_u32 s9, s33
	s_cselect_b64 s[4:5], -1, 0
	v_cmp_gt_u32_e32 vcc, 8, v0
	s_and_b64 s[4:5], vcc, s[4:5]
	s_and_saveexec_b64 s[6:7], s[4:5]
	s_cbranch_execz .LBB2_63
; %bb.62:
	v_lshl_add_u32 v1, v0, 2, 0
	ds_read_b32 v2, v1 offset:36912
	v_add_u32_e32 v0, s70, v0
	v_ashrrev_i32_e32 v1, 31, v0
	v_lshlrev_b64 v[0:1], 2, v[0:1]
	v_mov_b32_e32 v3, s61
	v_add_co_u32_e32 v0, vcc, s60, v0
	v_addc_co_u32_e32 v1, vcc, v3, v1, vcc
	s_waitcnt lgkmcnt(0)
	global_store_dword v[0:1], v2, off
.LBB2_63:
	s_endpgm
.LBB2_64:
	v_mov_b32_e32 v1, s16
	v_add_co_u32_e32 v8, vcc, s8, v2
	v_addc_co_u32_e32 v9, vcc, v1, v3, vcc
	global_load_dword v1, v[8:9], off
	v_mov_b32_e32 v11, s7
	s_waitcnt vmcnt(0)
	v_mul_f32_e32 v8, 0xbfb8aa3b, v1
	v_exp_f32_e32 v8, v8
	v_add_f32_e32 v8, 1.0, v8
	v_div_scale_f32 v9, s[18:19], v8, v8, v1
	v_rcp_f32_e32 v10, v9
	v_div_scale_f32 v12, vcc, v1, v8, v1
	v_fma_f32 v13, -v9, v10, 1.0
	v_fmac_f32_e32 v10, v13, v10
	v_mul_f32_e32 v13, v12, v10
	v_fma_f32 v14, -v9, v13, v12
	v_fmac_f32_e32 v13, v14, v10
	v_fma_f32 v9, -v9, v13, v12
	v_div_fmas_f32 v9, v9, v10, v13
	v_div_fixup_f32 v1, v9, v8, v1
	v_add_co_u32_e32 v8, vcc, s6, v2
	v_mul_f32_e32 v1, v6, v1
	v_addc_co_u32_e32 v9, vcc, v11, v3, vcc
	global_store_dword v[8:9], v1, off
	s_or_b64 exec, exec, s[4:5]
	s_and_saveexec_b64 s[4:5], s[10:11]
	s_cbranch_execz .LBB2_58
.LBB2_65:
	v_mov_b32_e32 v1, s16
	v_add_co_u32_e32 v8, vcc, s8, v2
	v_addc_co_u32_e32 v9, vcc, v1, v3, vcc
	global_load_dword v1, v[8:9], off offset:4
	v_mov_b32_e32 v10, s7
	s_waitcnt vmcnt(0)
	v_mul_f32_e32 v6, 0xbfb8aa3b, v1
	v_exp_f32_e32 v6, v6
	v_add_f32_e32 v6, 1.0, v6
	v_div_scale_f32 v8, s[10:11], v6, v6, v1
	v_rcp_f32_e32 v9, v8
	v_div_scale_f32 v11, vcc, v1, v6, v1
	v_fma_f32 v12, -v8, v9, 1.0
	v_fmac_f32_e32 v9, v12, v9
	v_mul_f32_e32 v12, v11, v9
	v_fma_f32 v13, -v8, v12, v11
	v_fmac_f32_e32 v12, v13, v9
	v_fma_f32 v8, -v8, v12, v11
	v_div_fmas_f32 v8, v8, v9, v12
	v_div_fixup_f32 v1, v8, v6, v1
	v_add_co_u32_e32 v6, vcc, s6, v2
	v_mul_f32_e32 v1, v7, v1
	v_addc_co_u32_e32 v7, vcc, v10, v3, vcc
	global_store_dword v[6:7], v1, off offset:4
	s_or_b64 exec, exec, s[4:5]
	s_and_saveexec_b64 s[4:5], s[12:13]
	s_cbranch_execz .LBB2_59
.LBB2_66:
	v_mov_b32_e32 v1, s16
	v_add_co_u32_e32 v6, vcc, s8, v2
	v_addc_co_u32_e32 v7, vcc, v1, v3, vcc
	global_load_dword v1, v[6:7], off offset:8
	v_mov_b32_e32 v9, s7
	s_waitcnt vmcnt(0)
	v_mul_f32_e32 v6, 0xbfb8aa3b, v1
	v_exp_f32_e32 v6, v6
	v_add_f32_e32 v6, 1.0, v6
	v_div_scale_f32 v7, s[10:11], v6, v6, v1
	v_rcp_f32_e32 v8, v7
	v_div_scale_f32 v10, vcc, v1, v6, v1
	v_fma_f32 v11, -v7, v8, 1.0
	v_fmac_f32_e32 v8, v11, v8
	v_mul_f32_e32 v11, v10, v8
	v_fma_f32 v12, -v7, v11, v10
	v_fmac_f32_e32 v11, v12, v8
	v_fma_f32 v7, -v7, v11, v10
	v_div_fmas_f32 v7, v7, v8, v11
	v_div_fixup_f32 v1, v7, v6, v1
	v_add_co_u32_e32 v6, vcc, s6, v2
	v_mul_f32_e32 v1, v4, v1
	v_addc_co_u32_e32 v7, vcc, v9, v3, vcc
	global_store_dword v[6:7], v1, off offset:8
	s_or_b64 exec, exec, s[4:5]
	s_and_saveexec_b64 s[4:5], s[14:15]
	s_cbranch_execnz .LBB2_60
	s_branch .LBB2_61
	.section	.rodata,"a",@progbits
	.p2align	6, 0x0
	.amdhsa_kernel _Z26selective_scan_vllm_kernelI18SSMFwdKernelTraitsILi128ELi4ELi8ELb1ELb1ELb0EEEv13SSMParamsBase
		.amdhsa_group_segment_fixed_size 0
		.amdhsa_private_segment_fixed_size 48
		.amdhsa_kernarg_size 144
		.amdhsa_user_sgpr_count 8
		.amdhsa_user_sgpr_private_segment_buffer 1
		.amdhsa_user_sgpr_dispatch_ptr 0
		.amdhsa_user_sgpr_queue_ptr 0
		.amdhsa_user_sgpr_kernarg_segment_ptr 1
		.amdhsa_user_sgpr_dispatch_id 0
		.amdhsa_user_sgpr_flat_scratch_init 1
		.amdhsa_user_sgpr_kernarg_preload_length 0
		.amdhsa_user_sgpr_kernarg_preload_offset 0
		.amdhsa_user_sgpr_private_segment_size 0
		.amdhsa_uses_dynamic_stack 0
		.amdhsa_system_sgpr_private_segment_wavefront_offset 1
		.amdhsa_system_sgpr_workgroup_id_x 1
		.amdhsa_system_sgpr_workgroup_id_y 1
		.amdhsa_system_sgpr_workgroup_id_z 0
		.amdhsa_system_sgpr_workgroup_info 0
		.amdhsa_system_vgpr_workitem_id 0
		.amdhsa_next_free_vgpr 42
		.amdhsa_next_free_sgpr 95
		.amdhsa_accum_offset 44
		.amdhsa_reserve_vcc 1
		.amdhsa_reserve_flat_scratch 0
		.amdhsa_float_round_mode_32 0
		.amdhsa_float_round_mode_16_64 0
		.amdhsa_float_denorm_mode_32 3
		.amdhsa_float_denorm_mode_16_64 3
		.amdhsa_dx10_clamp 1
		.amdhsa_ieee_mode 1
		.amdhsa_fp16_overflow 0
		.amdhsa_tg_split 0
		.amdhsa_exception_fp_ieee_invalid_op 0
		.amdhsa_exception_fp_denorm_src 0
		.amdhsa_exception_fp_ieee_div_zero 0
		.amdhsa_exception_fp_ieee_overflow 0
		.amdhsa_exception_fp_ieee_underflow 0
		.amdhsa_exception_fp_ieee_inexact 0
		.amdhsa_exception_int_div_zero 0
	.end_amdhsa_kernel
	.section	.text._Z26selective_scan_vllm_kernelI18SSMFwdKernelTraitsILi128ELi4ELi8ELb1ELb1ELb0EEEv13SSMParamsBase,"axG",@progbits,_Z26selective_scan_vllm_kernelI18SSMFwdKernelTraitsILi128ELi4ELi8ELb1ELb1ELb0EEEv13SSMParamsBase,comdat
.Lfunc_end2:
	.size	_Z26selective_scan_vllm_kernelI18SSMFwdKernelTraitsILi128ELi4ELi8ELb1ELb1ELb0EEEv13SSMParamsBase, .Lfunc_end2-_Z26selective_scan_vllm_kernelI18SSMFwdKernelTraitsILi128ELi4ELi8ELb1ELb1ELb0EEEv13SSMParamsBase
                                        ; -- End function
	.section	.AMDGPU.csdata,"",@progbits
; Kernel info:
; codeLenInByte = 4592
; NumSgprs: 99
; NumVgprs: 42
; NumAgprs: 0
; TotalNumVgprs: 42
; ScratchSize: 48
; MemoryBound: 0
; FloatMode: 240
; IeeeMode: 1
; LDSByteSize: 0 bytes/workgroup (compile time only)
; SGPRBlocks: 12
; VGPRBlocks: 5
; NumSGPRsForWavesPerEU: 99
; NumVGPRsForWavesPerEU: 42
; AccumOffset: 44
; Occupancy: 8
; WaveLimiterHint : 0
; COMPUTE_PGM_RSRC2:SCRATCH_EN: 1
; COMPUTE_PGM_RSRC2:USER_SGPR: 8
; COMPUTE_PGM_RSRC2:TRAP_HANDLER: 0
; COMPUTE_PGM_RSRC2:TGID_X_EN: 1
; COMPUTE_PGM_RSRC2:TGID_Y_EN: 1
; COMPUTE_PGM_RSRC2:TGID_Z_EN: 0
; COMPUTE_PGM_RSRC2:TIDIG_COMP_CNT: 0
; COMPUTE_PGM_RSRC3_GFX90A:ACCUM_OFFSET: 10
; COMPUTE_PGM_RSRC3_GFX90A:TG_SPLIT: 0
	.section	.text._Z26selective_scan_vllm_kernelI18SSMFwdKernelTraitsILi128ELi4ELi8ELb1ELb0ELb1EEEv13SSMParamsBase,"axG",@progbits,_Z26selective_scan_vllm_kernelI18SSMFwdKernelTraitsILi128ELi4ELi8ELb1ELb0ELb1EEEv13SSMParamsBase,comdat
	.protected	_Z26selective_scan_vllm_kernelI18SSMFwdKernelTraitsILi128ELi4ELi8ELb1ELb0ELb1EEEv13SSMParamsBase ; -- Begin function _Z26selective_scan_vllm_kernelI18SSMFwdKernelTraitsILi128ELi4ELi8ELb1ELb0ELb1EEEv13SSMParamsBase
	.globl	_Z26selective_scan_vllm_kernelI18SSMFwdKernelTraitsILi128ELi4ELi8ELb1ELb0ELb1EEEv13SSMParamsBase
	.p2align	8
	.type	_Z26selective_scan_vllm_kernelI18SSMFwdKernelTraitsILi128ELi4ELi8ELb1ELb0ELb1EEEv13SSMParamsBase,@function
_Z26selective_scan_vllm_kernelI18SSMFwdKernelTraitsILi128ELi4ELi8ELb1ELb0ELb1EEEv13SSMParamsBase: ; @_Z26selective_scan_vllm_kernelI18SSMFwdKernelTraitsILi128ELi4ELi8ELb1ELb0ELb1EEEv13SSMParamsBase
; %bb.0:
	s_load_dword s12, s[4:5], 0x4
	s_load_dword s33, s[4:5], 0x10
	s_add_u32 s0, s0, s10
	s_addc_u32 s1, s1, 0
	s_load_dwordx16 s[36:51], s[4:5], 0x18
	s_load_dwordx8 s[52:59], s[4:5], 0x58
	s_waitcnt lgkmcnt(0)
	s_abs_i32 s13, s12
	v_cvt_f32_u32_e32 v1, s13
	s_load_dwordx2 s[28:29], s[4:5], 0x88
	s_load_dwordx4 s[60:63], s[4:5], 0x78
	s_sub_i32 s4, 0, s13
	s_abs_i32 s15, s8
	v_rcp_iflag_f32_e32 v1, v1
	s_mov_b32 s68, 0
	s_ashr_i32 s14, s8, 31
	s_ashr_i32 s16, s12, 31
	v_mul_f32_e32 v1, 0x4f7ffffe, v1
	v_cvt_u32_f32_e32 v1, v1
	v_cmp_eq_u32_e64 s[6:7], 0, v0
	v_readfirstlane_b32 s5, v1
	s_mul_i32 s4, s4, s5
	s_mul_hi_u32 s4, s5, s4
	s_add_i32 s5, s5, s4
	s_mul_hi_u32 s17, s15, s5
	v_cmp_ne_u32_e64 s[4:5], 0, v0
	s_and_saveexec_b64 s[10:11], s[6:7]
	s_cbranch_execz .LBB3_2
; %bb.1:
	v_mov_b32_e32 v2, 0x7f
	v_mov_b32_e32 v3, 3
	;; [unrolled: 1-line block ×3, first 2 shown]
	ds_write_b64 v1, v[2:3] offset:36944
.LBB3_2:
	s_or_b64 exec, exec, s[10:11]
	s_mul_i32 s11, s17, s13
	s_sub_i32 s11, s15, s11
	s_xor_b32 s10, s14, s16
	s_add_i32 s14, s17, 1
	s_sub_i32 s15, s11, s13
	s_cmp_ge_u32 s11, s13
	s_cselect_b32 s14, s14, s17
	s_cselect_b32 s11, s15, s11
	s_add_i32 s15, s14, 1
	s_cmp_ge_u32 s11, s13
	s_cselect_b32 s11, s15, s14
	s_xor_b32 s11, s11, s10
	s_sub_i32 s31, s11, s10
	s_mul_i32 s10, s31, s12
	s_sub_i32 s30, s8, s10
	s_waitcnt lgkmcnt(0)
	s_mul_i32 s10, s31, s60
	s_ashr_i32 s11, s10, 31
	s_lshl_b32 s66, s9, 9
	s_lshl_b64 s[64:65], s[10:11], 2
	s_add_u32 s12, s36, s64
	s_mul_i32 s10, s30, s61
	s_addc_u32 s13, s37, s65
	s_ashr_i32 s11, s10, 31
	s_lshl_b64 s[36:37], s[10:11], 2
	s_add_u32 s10, s12, s36
	v_lshlrev_b32_e32 v1, 2, v0
	s_addc_u32 s11, s13, s37
	v_or_b32_e32 v2, s66, v1
	s_add_u32 s12, s38, s64
	v_ashrrev_i32_e32 v3, 31, v2
	s_addc_u32 s13, s39, s65
	v_lshlrev_b64 v[2:3], 2, v[2:3]
	s_add_u32 s12, s12, s36
	v_mov_b32_e32 v5, s11
	v_add_co_u32_e32 v4, vcc, s10, v2
	s_addc_u32 s13, s13, s37
	v_addc_co_u32_e32 v5, vcc, v5, v3, vcc
	v_mov_b32_e32 v9, s13
	v_add_co_u32_e32 v8, vcc, s12, v2
	v_addc_co_u32_e32 v9, vcc, v9, v3, vcc
	s_barrier
	global_load_dwordx4 v[4:7], v[4:5], off
	s_mul_i32 s60, s31, s62
	global_load_dwordx4 v[8:11], v[8:9], off
	s_mul_i32 s61, s31, s28
	s_ashr_i32 s31, s30, 31
	s_mul_i32 s62, s30, s29
	s_lshl_b64 s[28:29], s[30:31], 2
	s_add_u32 s38, s48, s28
	s_addc_u32 s39, s49, s29
	s_load_dword s38, s[38:39], 0x0
	s_add_i32 s31, 0, 0x810
	s_add_u32 s28, s46, s28
	v_lshlrev_b32_e32 v14, 4, v0
	s_addc_u32 s29, s47, s29
	s_lshl_b32 s46, s30, 3
	v_mov_b32_e32 v32, 0
	v_add_u32_e32 v34, 0, v14
	s_cmp_lg_u32 s9, 0
	ds_read_b64 v[12:13], v32 offset:36944
	v_add3_u32 v35, 0, 16, v14
	v_add_u32_e32 v36, 0x810, v34
	v_mbcnt_lo_u32_b32 v15, -1, 0
	v_add_u32_e32 v40, s31, v14
	v_mbcnt_hi_u32_b32 v15, -1, v15
	v_or_b32_e32 v16, 63, v0
	v_lshrrev_b32_e32 v17, 3, v0
	v_add_u32_e32 v19, -1, v15
	v_and_b32_e32 v20, 64, v15
	s_mul_i32 s8, s8, s33
	v_cmp_eq_u32_e64 s[12:13], v16, v0
	v_and_b32_e32 v16, 8, v17
	v_and_b32_e32 v17, 15, v15
	v_cmp_lt_i32_e32 vcc, v19, v20
	v_and_b32_e32 v18, 16, v15
	v_add_u32_e32 v37, 0, v16
	v_and_b32_e32 v16, 1, v15
	v_cmp_eq_u32_e64 s[16:17], 0, v17
	v_cmp_lt_u32_e64 s[18:19], 1, v17
	v_cmp_lt_u32_e64 s[20:21], 3, v17
	;; [unrolled: 1-line block ×3, first 2 shown]
	v_cndmask_b32_e32 v17, v19, v15, vcc
	v_cmp_gt_u32_e64 s[34:35], 2, v0
	v_cmp_lt_u32_e64 s[10:11], 63, v0
	v_lshl_add_u32 v33, v0, 3, 0
	v_cmp_lt_u32_e64 s[14:15], 31, v15
	v_cmp_eq_u32_e64 s[24:25], 0, v18
	v_cmp_eq_u32_e64 s[26:27], 0, v16
	v_add_u32_e32 v38, -8, v37
	v_lshlrev_b32_e32 v39, 2, v17
	s_waitcnt lgkmcnt(0)
	v_cmp_eq_u32_e64 s[30:31], v0, v12
	v_add_u32_e32 v42, 0x1010, v34
	v_mov_b32_e32 v43, s43
	v_mov_b32_e32 v44, s45
	s_waitcnt vmcnt(1)
	ds_write2_b32 v34, v4, v5 offset0:4 offset1:5
	ds_write2_b32 v35, v6, v7 offset0:2 offset1:3
	s_waitcnt vmcnt(0)
	v_pk_add_f32 v[4:5], v[8:9], s[38:39] op_sel_hi:[1,0]
	v_pk_add_f32 v[6:7], v[10:11], s[38:39] op_sel_hi:[1,0]
	s_cselect_b64 s[38:39], -1, 0
	s_add_i32 s62, s62, s61
	s_ashr_i32 s69, s9, 31
	s_add_u32 s70, s56, -4
	ds_write2_b32 v36, v4, v5 offset1:1
	ds_write2_b32 v40, v6, v7 offset0:2 offset1:3
	s_waitcnt lgkmcnt(0)
	s_barrier
	s_load_dword s28, s[28:29], 0x0
	ds_read2_b32 v[6:7], v34 offset0:4 offset1:5
	ds_read2_b32 v[4:5], v35 offset0:2 offset1:3
	s_addc_u32 s71, s57, -1
	s_add_u32 s72, s58, -4
	s_addc_u32 s73, s59, -1
	s_ashr_i32 s47, s46, 31
	s_add_i32 s60, s60, s66
	s_lshl_b32 s8, s8, 3
	s_lshl_b64 s[46:47], s[46:47], 2
	v_lshlrev_b32_e32 v8, 3, v13
	s_add_u32 s40, s40, s46
	s_waitcnt lgkmcnt(0)
	v_pk_mul_f32 v[4:5], s[28:29], v[4:5] op_sel_hi:[0,1]
	v_pk_mul_f32 v[6:7], s[28:29], v[6:7] op_sel_hi:[0,1]
	v_cmp_eq_u32_e64 s[28:29], 0, v15
	v_add_u32_e32 v41, 0, v8
	v_add_u32_e32 v8, s60, v1
	s_addc_u32 s41, s41, s47
	s_add_i32 s74, 0, 0x9010
	s_mov_b32 s46, s62
	s_branch .LBB3_4
.LBB3_3:                                ;   in Loop: Header=BB3_4 Depth=1
	s_or_b64 exec, exec, s[48:49]
	s_add_i32 s74, s74, 4
	s_addk_i32 s68, 0x800
	s_add_i32 s46, s46, 1
	s_add_i32 s8, s8, s33
	v_mov_b32_e32 v10, v11
	s_add_u32 s40, s40, 4
	s_waitcnt vmcnt(4)
	v_pk_fma_f32 v[18:19], v[10:11], v[18:19], v[20:21] op_sel_hi:[0,1,1]
	s_waitcnt vmcnt(0)
	v_pk_fma_f32 v[10:11], v[10:11], v[12:13], v[14:15] op_sel_hi:[0,1,1]
	s_addc_u32 s41, s41, 0
	s_waitcnt lgkmcnt(1)
	v_pk_fma_f32 v[6:7], v[22:23], v[18:19], v[6:7]
	s_waitcnt lgkmcnt(0)
	v_pk_fma_f32 v[4:5], v[16:17], v[10:11], v[4:5]
	s_cmpk_eq_i32 s68, 0x4000
	v_add_u32_e32 v8, s63, v8
	s_barrier
	s_cbranch_scc1 .LBB3_22
.LBB3_4:                                ; =>This Inner Loop Header: Depth=1
	s_and_saveexec_b64 s[48:49], s[6:7]
	s_cbranch_execz .LBB3_9
; %bb.5:                                ;   in Loop: Header=BB3_4 Depth=1
	s_and_b64 vcc, exec, s[38:39]
	s_cbranch_vccz .LBB3_21
; %bb.6:                                ;   in Loop: Header=BB3_4 Depth=1
	s_ashr_i32 s43, s8, 31
	s_add_u32 s60, s9, s8
	s_addc_u32 s61, s69, s43
	s_lshl_b64 s[60:61], s[60:61], 2
	s_add_u32 s66, s70, s60
	s_addc_u32 s67, s71, s61
	global_load_dword v1, v32, s[66:67]
	s_add_u32 s60, s72, s60
	s_addc_u32 s61, s73, s61
	s_cbranch_execnz .LBB3_8
.LBB3_7:                                ;   in Loop: Header=BB3_4 Depth=1
	s_ashr_i32 s47, s46, 31
	s_lshl_b64 s[60:61], s[46:47], 2
	s_add_u32 s60, s52, s60
	s_addc_u32 s61, s53, s61
	s_waitcnt vmcnt(0)
	v_mov_b32_e32 v1, 1.0
.LBB3_8:                                ;   in Loop: Header=BB3_4 Depth=1
	global_load_dword v9, v32, s[60:61]
	v_mov_b32_e32 v10, s74
	s_waitcnt vmcnt(0)
	ds_write2_b32 v10, v1, v9 offset1:8
.LBB3_9:                                ;   in Loop: Header=BB3_4 Depth=1
	s_or_b64 exec, exec, s[48:49]
	v_ashrrev_i32_e32 v9, 31, v8
	v_lshlrev_b64 v[14:15], 2, v[8:9]
	v_add_co_u32_e32 v10, vcc, s42, v14
	v_addc_co_u32_e32 v11, vcc, v43, v15, vcc
	v_add_co_u32_e32 v14, vcc, s44, v14
	global_load_dwordx4 v[10:13], v[10:11], off
	v_addc_co_u32_e32 v15, vcc, v44, v15, vcc
	global_load_dwordx4 v[14:17], v[14:15], off
	v_add_u32_e32 v1, s68, v42
	v_add_u32_e32 v9, 0x4000, v1
	;; [unrolled: 1-line block ×3, first 2 shown]
	s_waitcnt vmcnt(1)
	ds_write2_b32 v1, v10, v11 offset1:1
	s_waitcnt vmcnt(0)
	ds_write2_b32 v9, v14, v15 offset1:1
	ds_write2_b32 v1, v12, v13 offset0:2 offset1:3
	ds_write2_b32 v45, v16, v17 offset1:1
	s_waitcnt lgkmcnt(0)
	s_barrier
	global_load_dword v22, v32, s[40:41]
	v_mov_b32_e32 v10, s74
	ds_read2_b32 v[10:11], v10 offset1:8
	ds_read2_b32 v[12:13], v36 offset1:1
	;; [unrolled: 1-line block ×3, first 2 shown]
	ds_read2_b32 v[16:17], v1 offset0:2 offset1:3
	ds_read2_b32 v[18:19], v40 offset0:2 offset1:3
	;; [unrolled: 1-line block ×4, first 2 shown]
	s_waitcnt lgkmcnt(4)
	v_mul_f32_e32 v1, v12, v14
	v_mul_f32_e32 v14, v13, v15
	s_waitcnt lgkmcnt(2)
	v_mul_f32_e32 v15, v18, v16
	s_waitcnt lgkmcnt(1)
	v_mul_f32_e32 v46, v20, v1
	v_mul_f32_e32 v23, v21, v14
	;; [unrolled: 1-line block ×3, first 2 shown]
	s_waitcnt lgkmcnt(0)
	v_mul_f32_e32 v47, v24, v15
	v_mul_f32_e32 v21, v25, v16
	s_waitcnt vmcnt(0)
	v_mul_f32_e32 v1, v12, v22
	v_mul_f32_e32 v12, v13, v22
	;; [unrolled: 1-line block ×6, first 2 shown]
	v_exp_f32_e32 v22, v12
	v_mul_f32_e32 v13, 0x3fb8aa3b, v13
	v_exp_f32_e32 v12, v1
	v_mul_f32_e32 v14, 0x3fb8aa3b, v14
	v_exp_f32_e32 v26, v13
	v_exp_f32_e32 v27, v14
	v_mul_f32_e32 v13, v46, v22
	v_pk_mul_f32 v[14:15], v[12:13], v[22:23]
	v_pk_add_f32 v[16:17], v[12:13], v[22:23]
	v_fma_f32 v19, v17, v26, v47
	v_mov_b32_e32 v18, v14
	v_mov_b32_e32 v20, v27
	;; [unrolled: 1-line block ×3, first 2 shown]
	v_pk_mul_f32 v[16:17], v[18:19], v[26:27]
	v_pk_fma_f32 v[28:29], v[18:19], v[26:27], v[20:21]
	v_pk_mul_f32 v[24:25], v[16:17], v[20:21]
	s_nop 0
	v_mov_b32_dpp v13, v29 row_shr:1 row_mask:0xf bank_mask:0xf
	v_mov_b32_dpp v15, v24 row_shr:1 row_mask:0xf bank_mask:0xf
	v_fma_f32 v13, v24, v13, v29
	v_mul_f32_e32 v15, v24, v15
	v_cndmask_b32_e64 v13, v13, v29, s[16:17]
	v_cndmask_b32_e64 v15, v15, v24, s[16:17]
	s_nop 0
	v_mov_b32_dpp v17, v13 row_shr:2 row_mask:0xf bank_mask:0xf
	v_mov_b32_dpp v18, v15 row_shr:2 row_mask:0xf bank_mask:0xf
	v_fma_f32 v17, v15, v17, v13
	v_mul_f32_e32 v18, v15, v18
	v_cndmask_b32_e64 v13, v13, v17, s[18:19]
	v_cndmask_b32_e64 v15, v15, v18, s[18:19]
	;; [unrolled: 7-line block ×4, first 2 shown]
	s_nop 0
	v_mov_b32_dpp v17, v13 row_bcast:15 row_mask:0xf bank_mask:0xf
	v_mov_b32_dpp v18, v15 row_bcast:15 row_mask:0xf bank_mask:0xf
	v_fma_f32 v17, v15, v17, v13
	v_mul_f32_e32 v18, v15, v18
	v_cndmask_b32_e64 v17, v17, v13, s[24:25]
	v_cndmask_b32_e64 v18, v18, v15, s[24:25]
	s_nop 0
	v_mov_b32_dpp v13, v17 row_bcast:31 row_mask:0xf bank_mask:0xf
	v_mov_b32_dpp v15, v18 row_bcast:31 row_mask:0xf bank_mask:0xf
	v_fma_f32 v20, v18, v13, v17
	v_mul_f32_e32 v25, v18, v15
	v_cndmask_b32_e64 v13, v17, v20, s[14:15]
	v_cndmask_b32_e64 v15, v18, v25, s[14:15]
	s_and_saveexec_b64 s[48:49], s[12:13]
	s_cbranch_execz .LBB3_11
; %bb.10:                               ;   in Loop: Header=BB3_4 Depth=1
	v_cndmask_b32_e64 v17, v17, v20, s[14:15]
	v_cndmask_b32_e64 v18, v18, v25, s[14:15]
	ds_write2_b32 v37, v18, v17 offset1:1
.LBB3_11:                               ;   in Loop: Header=BB3_4 Depth=1
	s_or_b64 exec, exec, s[48:49]
	s_waitcnt lgkmcnt(0)
	s_barrier
	s_and_saveexec_b64 s[48:49], s[34:35]
	s_cbranch_execz .LBB3_13
; %bb.12:                               ;   in Loop: Header=BB3_4 Depth=1
	ds_read2_b32 v[30:31], v33 offset1:1
	s_waitcnt lgkmcnt(0)
	s_nop 0
	v_mov_b32_dpp v17, v30 row_shr:1 row_mask:0xf bank_mask:0xf
	v_mov_b32_dpp v18, v31 row_shr:1 row_mask:0xf bank_mask:0xf
	v_fma_f32 v18, v30, v18, v31
	v_mul_f32_e32 v17, v30, v17
	v_cndmask_b32_e64 v17, v17, v30, s[26:27]
	v_cndmask_b32_e64 v18, v18, v31, s[26:27]
	ds_write2_b32 v33, v17, v18 offset1:1
.LBB3_13:                               ;   in Loop: Header=BB3_4 Depth=1
	s_or_b64 exec, exec, s[48:49]
	s_waitcnt lgkmcnt(0)
	s_barrier
	s_waitcnt lgkmcnt(0)
                                        ; implicit-def: $vgpr30
	s_and_saveexec_b64 s[48:49], s[10:11]
	s_cbranch_execz .LBB3_15
; %bb.14:                               ;   in Loop: Header=BB3_4 Depth=1
	ds_read2_b32 v[30:31], v38 offset1:1
	s_waitcnt lgkmcnt(0)
	v_mul_f32_e32 v17, v15, v30
	v_fmac_f32_e32 v13, v15, v31
	v_mov_b32_e32 v15, v17
.LBB3_15:                               ;   in Loop: Header=BB3_4 Depth=1
	s_or_b64 exec, exec, s[48:49]
	ds_bpermute_b32 v15, v39, v15
	ds_bpermute_b32 v13, v39, v13
	s_and_saveexec_b64 s[48:49], s[4:5]
	s_xor_b64 s[48:49], exec, s[48:49]
	s_cbranch_execz .LBB3_17
; %bb.16:                               ;   in Loop: Header=BB3_4 Depth=1
	s_waitcnt lgkmcnt(1)
	v_cndmask_b32_e64 v1, v15, v30, s[28:29]
	v_mul_f32_e32 v24, v12, v1
	s_waitcnt lgkmcnt(0)
	v_cndmask_b32_e64 v1, v13, v31, s[28:29]
	v_fmac_f32_e32 v46, v12, v1
	v_fmac_f32_e32 v23, v46, v22
	v_mov_b32_e32 v25, v23
	v_mov_b32_e32 v12, v22
	;; [unrolled: 1-line block ×3, first 2 shown]
	v_pk_mul_f32 v[14:15], v[24:25], v[12:13]
	v_mul_f32_e32 v16, v14, v26
	v_add_f32_e32 v19, v15, v47
	v_mul_f32_e32 v20, v16, v27
	v_fmac_f32_e32 v21, v19, v27
	v_mov_b32_e32 v25, v46
	;;#ASMSTART
	;;#ASMEND
	v_mov_b32_e32 v1, v23
	v_pk_mov_b32 v[12:13], v[24:25], v[24:25] op_sel:[0,1]
	v_pk_mov_b32 v[24:25], v[20:21], v[20:21] op_sel:[0,1]
                                        ; implicit-def: $vgpr28_vgpr29
                                        ; implicit-def: $vgpr46
.LBB3_17:                               ;   in Loop: Header=BB3_4 Depth=1
	s_andn2_saveexec_b64 s[48:49], s[48:49]
	s_cbranch_execz .LBB3_19
; %bb.18:                               ;   in Loop: Header=BB3_4 Depth=1
	v_mov_b32_e32 v25, v29
	s_waitcnt lgkmcnt(0)
	v_mov_b32_e32 v13, v46
.LBB3_19:                               ;   in Loop: Header=BB3_4 Depth=1
	s_or_b64 exec, exec, s[48:49]
	s_waitcnt lgkmcnt(0)
	buffer_store_dword v13, off, s[0:3], 0 offset:4
	buffer_store_dword v12, off, s[0:3], 0
	buffer_store_dword v1, off, s[0:3], 0 offset:12
	buffer_store_dword v14, off, s[0:3], 0 offset:8
	;; [unrolled: 1-line block ×6, first 2 shown]
	s_barrier
	buffer_load_dword v18, off, s[0:3], 0
	buffer_load_dword v20, off, s[0:3], 0 offset:4
	buffer_load_dword v19, off, s[0:3], 0 offset:8
	;; [unrolled: 1-line block ×7, first 2 shown]
	ds_read2_b32 v[22:23], v9 offset1:1
	ds_read2_b32 v[16:17], v45 offset1:1
	s_and_saveexec_b64 s[48:49], s[30:31]
	s_cbranch_execz .LBB3_3
; %bb.20:                               ;   in Loop: Header=BB3_4 Depth=1
	buffer_load_dword v1, v41, s[0:3], 0 offen
	buffer_load_dword v9, v41, s[0:3], 0 offen offset:4
	s_add_i32 s60, s9, s8
	s_ashr_i32 s61, s60, 31
	s_lshl_b64 s[60:61], s[60:61], 2
	s_add_u32 s66, s56, s60
	s_addc_u32 s67, s57, s61
	v_mov_b32_e32 v24, s74
	s_add_u32 s60, s58, s60
	s_addc_u32 s61, s59, s61
	s_waitcnt vmcnt(1)
	v_mul_f32_e32 v10, v10, v1
	s_waitcnt vmcnt(0)
	v_fmac_f32_e32 v9, v11, v1
	global_store_dword v32, v10, s[66:67]
	global_store_dword v32, v9, s[60:61]
	ds_write2_b32 v24, v10, v9 offset1:8
	s_branch .LBB3_3
.LBB3_21:                               ;   in Loop: Header=BB3_4 Depth=1
                                        ; implicit-def: $sgpr60_sgpr61
                                        ; implicit-def: $vgpr1
	s_branch .LBB3_7
.LBB3_22:
	s_add_u32 s4, s50, s64
	s_addc_u32 s5, s51, s65
	s_add_u32 s4, s4, s36
	s_addc_u32 s5, s5, s37
	v_mov_b32_e32 v1, s5
	v_add_co_u32_e32 v8, vcc, s4, v2
	v_addc_co_u32_e32 v9, vcc, v1, v3, vcc
	global_load_dword v1, v[8:9], off
	s_add_u32 s4, s54, s64
	s_addc_u32 s5, s55, s65
	s_add_u32 s6, s4, s36
	s_addc_u32 s4, s5, s37
	v_mov_b32_e32 v11, s4
	v_add_co_u32_e32 v2, vcc, s6, v2
	v_addc_co_u32_e32 v3, vcc, v11, v3, vcc
	s_add_i32 s33, s33, -1
	s_cmp_eq_u32 s9, s33
	s_waitcnt vmcnt(0)
	v_mul_f32_e32 v10, 0xbfb8aa3b, v1
	v_exp_f32_e32 v10, v10
	v_add_f32_e32 v10, 1.0, v10
	v_div_scale_f32 v12, s[4:5], v10, v10, v1
	v_rcp_f32_e32 v13, v12
	v_div_scale_f32 v11, vcc, v1, v10, v1
	v_fma_f32 v14, -v12, v13, 1.0
	v_fmac_f32_e32 v13, v14, v13
	v_mul_f32_e32 v14, v11, v13
	v_fma_f32 v15, -v12, v14, v11
	v_fmac_f32_e32 v14, v15, v13
	v_fma_f32 v11, -v12, v14, v11
	v_div_fmas_f32 v11, v11, v13, v14
	v_div_fixup_f32 v1, v11, v10, v1
	v_mul_f32_e32 v1, v6, v1
	global_store_dword v[2:3], v1, off
	global_load_dword v1, v[8:9], off offset:4
	s_waitcnt vmcnt(0)
	v_mul_f32_e32 v6, 0xbfb8aa3b, v1
	v_exp_f32_e32 v6, v6
	v_add_f32_e32 v6, 1.0, v6
	v_div_scale_f32 v10, s[4:5], v6, v6, v1
	v_rcp_f32_e32 v11, v10
	v_div_scale_f32 v12, vcc, v1, v6, v1
	v_fma_f32 v13, -v10, v11, 1.0
	v_fmac_f32_e32 v11, v13, v11
	v_mul_f32_e32 v13, v12, v11
	v_fma_f32 v14, -v10, v13, v12
	v_fmac_f32_e32 v13, v14, v11
	v_fma_f32 v10, -v10, v13, v12
	v_div_fmas_f32 v10, v10, v11, v13
	v_div_fixup_f32 v1, v10, v6, v1
	v_mul_f32_e32 v1, v7, v1
	global_store_dword v[2:3], v1, off offset:4
	global_load_dword v1, v[8:9], off offset:8
	s_waitcnt vmcnt(0)
	v_mul_f32_e32 v6, 0xbfb8aa3b, v1
	v_exp_f32_e32 v6, v6
	v_add_f32_e32 v6, 1.0, v6
	v_div_scale_f32 v7, s[4:5], v6, v6, v1
	v_rcp_f32_e32 v10, v7
	v_div_scale_f32 v11, vcc, v1, v6, v1
	v_cmp_gt_u32_e64 s[4:5], 8, v0
	v_fma_f32 v12, -v7, v10, 1.0
	v_fmac_f32_e32 v10, v12, v10
	v_mul_f32_e32 v12, v11, v10
	v_fma_f32 v13, -v7, v12, v11
	v_fmac_f32_e32 v12, v13, v10
	v_fma_f32 v7, -v7, v12, v11
	v_div_fmas_f32 v7, v7, v10, v12
	v_div_fixup_f32 v1, v7, v6, v1
	v_mul_f32_e32 v1, v4, v1
	global_store_dword v[2:3], v1, off offset:8
	global_load_dword v1, v[8:9], off offset:12
	s_waitcnt vmcnt(0)
	v_mul_f32_e32 v4, 0xbfb8aa3b, v1
	v_exp_f32_e32 v4, v4
	v_add_f32_e32 v4, 1.0, v4
	v_div_scale_f32 v6, s[6:7], v4, v4, v1
	v_rcp_f32_e32 v7, v6
	v_div_scale_f32 v8, vcc, v1, v4, v1
	s_cselect_b64 s[6:7], -1, 0
	v_fma_f32 v9, -v6, v7, 1.0
	v_fmac_f32_e32 v7, v9, v7
	v_mul_f32_e32 v9, v8, v7
	v_fma_f32 v10, -v6, v9, v8
	v_fmac_f32_e32 v9, v10, v7
	v_fma_f32 v6, -v6, v9, v8
	v_div_fmas_f32 v6, v6, v7, v9
	v_div_fixup_f32 v1, v6, v4, v1
	v_mul_f32_e32 v1, v5, v1
	s_and_b64 s[4:5], s[4:5], s[6:7]
	global_store_dword v[2:3], v1, off offset:12
	s_and_saveexec_b64 s[6:7], s[4:5]
	s_cbranch_execz .LBB3_24
; %bb.23:
	v_lshl_add_u32 v1, v0, 2, 0
	ds_read_b32 v2, v1 offset:36912
	v_add_u32_e32 v0, s62, v0
	v_ashrrev_i32_e32 v1, 31, v0
	v_lshlrev_b64 v[0:1], 2, v[0:1]
	v_mov_b32_e32 v3, s53
	v_add_co_u32_e32 v0, vcc, s52, v0
	v_addc_co_u32_e32 v1, vcc, v3, v1, vcc
	s_waitcnt lgkmcnt(0)
	global_store_dword v[0:1], v2, off
.LBB3_24:
	s_endpgm
	.section	.rodata,"a",@progbits
	.p2align	6, 0x0
	.amdhsa_kernel _Z26selective_scan_vllm_kernelI18SSMFwdKernelTraitsILi128ELi4ELi8ELb1ELb0ELb1EEEv13SSMParamsBase
		.amdhsa_group_segment_fixed_size 0
		.amdhsa_private_segment_fixed_size 48
		.amdhsa_kernarg_size 144
		.amdhsa_user_sgpr_count 8
		.amdhsa_user_sgpr_private_segment_buffer 1
		.amdhsa_user_sgpr_dispatch_ptr 0
		.amdhsa_user_sgpr_queue_ptr 0
		.amdhsa_user_sgpr_kernarg_segment_ptr 1
		.amdhsa_user_sgpr_dispatch_id 0
		.amdhsa_user_sgpr_flat_scratch_init 1
		.amdhsa_user_sgpr_kernarg_preload_length 0
		.amdhsa_user_sgpr_kernarg_preload_offset 0
		.amdhsa_user_sgpr_private_segment_size 0
		.amdhsa_uses_dynamic_stack 0
		.amdhsa_system_sgpr_private_segment_wavefront_offset 1
		.amdhsa_system_sgpr_workgroup_id_x 1
		.amdhsa_system_sgpr_workgroup_id_y 1
		.amdhsa_system_sgpr_workgroup_id_z 0
		.amdhsa_system_sgpr_workgroup_info 0
		.amdhsa_system_vgpr_workitem_id 0
		.amdhsa_next_free_vgpr 48
		.amdhsa_next_free_sgpr 75
		.amdhsa_accum_offset 48
		.amdhsa_reserve_vcc 1
		.amdhsa_reserve_flat_scratch 0
		.amdhsa_float_round_mode_32 0
		.amdhsa_float_round_mode_16_64 0
		.amdhsa_float_denorm_mode_32 3
		.amdhsa_float_denorm_mode_16_64 3
		.amdhsa_dx10_clamp 1
		.amdhsa_ieee_mode 1
		.amdhsa_fp16_overflow 0
		.amdhsa_tg_split 0
		.amdhsa_exception_fp_ieee_invalid_op 0
		.amdhsa_exception_fp_denorm_src 0
		.amdhsa_exception_fp_ieee_div_zero 0
		.amdhsa_exception_fp_ieee_overflow 0
		.amdhsa_exception_fp_ieee_underflow 0
		.amdhsa_exception_fp_ieee_inexact 0
		.amdhsa_exception_int_div_zero 0
	.end_amdhsa_kernel
	.section	.text._Z26selective_scan_vllm_kernelI18SSMFwdKernelTraitsILi128ELi4ELi8ELb1ELb0ELb1EEEv13SSMParamsBase,"axG",@progbits,_Z26selective_scan_vllm_kernelI18SSMFwdKernelTraitsILi128ELi4ELi8ELb1ELb0ELb1EEEv13SSMParamsBase,comdat
.Lfunc_end3:
	.size	_Z26selective_scan_vllm_kernelI18SSMFwdKernelTraitsILi128ELi4ELi8ELb1ELb0ELb1EEEv13SSMParamsBase, .Lfunc_end3-_Z26selective_scan_vllm_kernelI18SSMFwdKernelTraitsILi128ELi4ELi8ELb1ELb0ELb1EEEv13SSMParamsBase
                                        ; -- End function
	.section	.AMDGPU.csdata,"",@progbits
; Kernel info:
; codeLenInByte = 2876
; NumSgprs: 79
; NumVgprs: 48
; NumAgprs: 0
; TotalNumVgprs: 48
; ScratchSize: 48
; MemoryBound: 0
; FloatMode: 240
; IeeeMode: 1
; LDSByteSize: 0 bytes/workgroup (compile time only)
; SGPRBlocks: 9
; VGPRBlocks: 5
; NumSGPRsForWavesPerEU: 79
; NumVGPRsForWavesPerEU: 48
; AccumOffset: 48
; Occupancy: 8
; WaveLimiterHint : 0
; COMPUTE_PGM_RSRC2:SCRATCH_EN: 1
; COMPUTE_PGM_RSRC2:USER_SGPR: 8
; COMPUTE_PGM_RSRC2:TRAP_HANDLER: 0
; COMPUTE_PGM_RSRC2:TGID_X_EN: 1
; COMPUTE_PGM_RSRC2:TGID_Y_EN: 1
; COMPUTE_PGM_RSRC2:TGID_Z_EN: 0
; COMPUTE_PGM_RSRC2:TIDIG_COMP_CNT: 0
; COMPUTE_PGM_RSRC3_GFX90A:ACCUM_OFFSET: 11
; COMPUTE_PGM_RSRC3_GFX90A:TG_SPLIT: 0
	.section	.text._Z26selective_scan_vllm_kernelI18SSMFwdKernelTraitsILi128ELi4ELi8ELb1ELb0ELb0EEEv13SSMParamsBase,"axG",@progbits,_Z26selective_scan_vllm_kernelI18SSMFwdKernelTraitsILi128ELi4ELi8ELb1ELb0ELb0EEEv13SSMParamsBase,comdat
	.protected	_Z26selective_scan_vllm_kernelI18SSMFwdKernelTraitsILi128ELi4ELi8ELb1ELb0ELb0EEEv13SSMParamsBase ; -- Begin function _Z26selective_scan_vllm_kernelI18SSMFwdKernelTraitsILi128ELi4ELi8ELb1ELb0ELb0EEEv13SSMParamsBase
	.globl	_Z26selective_scan_vllm_kernelI18SSMFwdKernelTraitsILi128ELi4ELi8ELb1ELb0ELb0EEEv13SSMParamsBase
	.p2align	8
	.type	_Z26selective_scan_vllm_kernelI18SSMFwdKernelTraitsILi128ELi4ELi8ELb1ELb0ELb0EEEv13SSMParamsBase,@function
_Z26selective_scan_vllm_kernelI18SSMFwdKernelTraitsILi128ELi4ELi8ELb1ELb0ELb0EEEv13SSMParamsBase: ; @_Z26selective_scan_vllm_kernelI18SSMFwdKernelTraitsILi128ELi4ELi8ELb1ELb0ELb0EEEv13SSMParamsBase
; %bb.0:
	s_add_u32 s0, s0, s10
	s_load_dwordx2 s[10:11], s[4:5], 0x4
	s_addc_u32 s1, s1, 0
	s_load_dwordx16 s[44:59], s[4:5], 0x18
	s_load_dwordx2 s[36:37], s[4:5], 0x88
	s_load_dwordx4 s[68:71], s[4:5], 0x78
	s_abs_i32 s16, s8
	s_ashr_i32 s17, s8, 31
	s_waitcnt lgkmcnt(0)
	s_abs_i32 s15, s10
	v_cvt_f32_u32_e32 v1, s15
	s_sub_i32 s6, 0, s15
	s_lshl_b32 s14, s9, 9
	v_cmp_ne_u32_e64 s[42:43], 0, v0
	v_rcp_iflag_f32_e32 v1, v1
	s_ashr_i32 s18, s10, 31
	v_mul_f32_e32 v1, 0x4f7ffffe, v1
	v_cvt_u32_f32_e32 v1, v1
	v_readfirstlane_b32 s7, v1
	s_mul_i32 s6, s6, s7
	s_mul_hi_u32 s6, s7, s6
	s_add_i32 s7, s7, s6
	s_mul_hi_u32 s19, s16, s7
	v_cmp_eq_u32_e64 s[6:7], 0, v0
	s_and_saveexec_b64 s[12:13], s[6:7]
	s_cbranch_execz .LBB4_2
; %bb.1:
	s_add_i32 s20, s14, 0x200
	s_min_i32 s20, s20, s11
	s_not_b32 s21, s14
	s_add_i32 s20, s20, s21
	s_ashr_i32 s21, s20, 31
	s_lshr_b32 s21, s21, 30
	s_add_i32 s21, s20, s21
	s_ashr_i32 s22, s21, 2
	s_and_b32 s21, s21, -4
	s_sub_i32 s20, s20, s21
	v_mov_b32_e32 v2, s22
	v_mov_b32_e32 v3, s20
	;; [unrolled: 1-line block ×3, first 2 shown]
	ds_write_b64 v1, v[2:3] offset:36944
.LBB4_2:
	s_or_b64 exec, exec, s[12:13]
	s_mul_i32 s13, s19, s15
	s_sub_i32 s13, s16, s13
	s_xor_b32 s12, s17, s18
	s_add_i32 s16, s19, 1
	s_sub_i32 s17, s13, s15
	s_cmp_ge_u32 s13, s15
	s_cselect_b32 s16, s16, s19
	s_cselect_b32 s13, s17, s13
	s_add_i32 s17, s16, 1
	s_cmp_ge_u32 s13, s15
	s_cselect_b32 s13, s17, s16
	s_xor_b32 s13, s13, s12
	s_sub_i32 s40, s13, s12
	s_mul_i32 s12, s40, s68
	s_mul_i32 s10, s40, s10
	s_ashr_i32 s13, s12, 31
	s_sub_i32 s38, s8, s10
	s_lshl_b64 s[72:73], s[12:13], 2
	s_add_u32 s10, s44, s72
	s_mul_i32 s12, s38, s69
	s_addc_u32 s15, s45, s73
	s_ashr_i32 s13, s12, 31
	s_lshl_b64 s[68:69], s[12:13], 2
	v_mov_b32_e32 v4, 0
	s_add_u32 s25, s10, s68
	s_waitcnt lgkmcnt(0)
	s_barrier
	ds_read_b64 v[8:9], v4 offset:36944
	s_addc_u32 s26, s15, s69
	s_ashr_i32 s39, s38, 31
	v_lshlrev_b32_e32 v1, 2, v0
	s_lshl_b64 s[18:19], s[38:39], 2
	v_add_u32_e32 v2, s14, v1
	s_add_u32 s12, s56, s18
	s_addc_u32 s13, s57, s19
	v_cmp_gt_i32_e64 s[44:45], s11, v2
	v_ashrrev_i32_e32 v3, 31, v2
	v_mov_b32_e32 v5, 0
	s_and_saveexec_b64 s[14:15], s[44:45]
	s_cbranch_execz .LBB4_4
; %bb.3:
	v_lshlrev_b64 v[6:7], 2, v[2:3]
	v_mov_b32_e32 v5, s26
	v_add_co_u32_e32 v6, vcc, s25, v6
	v_addc_co_u32_e32 v7, vcc, v5, v7, vcc
	global_load_dword v5, v[6:7], off
.LBB4_4:
	s_or_b64 exec, exec, s[14:15]
	s_load_dword s22, s[12:13], 0x0
	s_add_u32 s10, s46, s72
	s_addc_u32 s12, s47, s73
	s_add_u32 s23, s10, s68
	s_addc_u32 s24, s12, s69
	s_and_saveexec_b64 s[12:13], s[44:45]
	s_cbranch_execz .LBB4_6
; %bb.5:
	v_lshlrev_b64 v[6:7], 2, v[2:3]
	v_mov_b32_e32 v4, s24
	v_add_co_u32_e32 v6, vcc, s23, v6
	v_addc_co_u32_e32 v7, vcc, v4, v7, vcc
	global_load_dword v4, v[6:7], off
.LBB4_6:
	s_or_b64 exec, exec, s[12:13]
	v_lshl_add_u32 v30, v1, 2, 0
	s_waitcnt vmcnt(0) lgkmcnt(0)
	v_add_f32_e32 v4, s22, v4
	v_add_u32_e32 v6, 16, v30
	ds_write2st64_b32 v6, v5, v4 offset1:8
	v_or_b32_e32 v4, 1, v2
	v_cmp_gt_i32_e64 s[12:13], s11, v4
	v_mov_b32_e32 v5, 0
	v_mov_b32_e32 v4, 0
	s_and_saveexec_b64 s[14:15], s[12:13]
	s_cbranch_execz .LBB4_8
; %bb.7:
	v_lshlrev_b64 v[6:7], 2, v[2:3]
	v_mov_b32_e32 v4, s26
	v_add_co_u32_e32 v6, vcc, s25, v6
	v_addc_co_u32_e32 v7, vcc, v4, v7, vcc
	global_load_dword v4, v[6:7], off offset:4
.LBB4_8:
	s_or_b64 exec, exec, s[14:15]
	s_and_saveexec_b64 s[14:15], s[12:13]
	s_cbranch_execz .LBB4_10
; %bb.9:
	v_lshlrev_b64 v[6:7], 2, v[2:3]
	v_mov_b32_e32 v5, s24
	v_add_co_u32_e32 v6, vcc, s23, v6
	v_addc_co_u32_e32 v7, vcc, v5, v7, vcc
	global_load_dword v5, v[6:7], off offset:4
.LBB4_10:
	s_or_b64 exec, exec, s[14:15]
	v_lshlrev_b32_e32 v1, 2, v1
	s_add_i32 s10, 0, 0x810
	v_add3_u32 v31, 0, 16, v1
	v_add_u32_e32 v32, s10, v1
	v_or_b32_e32 v1, 2, v2
	s_waitcnt vmcnt(0)
	v_add_f32_e32 v5, s22, v5
	ds_write_b32 v31, v4 offset:4
	v_cmp_gt_i32_e64 s[14:15], s11, v1
	v_mov_b32_e32 v4, 0
	v_mov_b32_e32 v1, 0
	ds_write_b32 v32, v5 offset:4
	s_and_saveexec_b64 s[16:17], s[14:15]
	s_cbranch_execz .LBB4_12
; %bb.11:
	v_lshlrev_b64 v[6:7], 2, v[2:3]
	v_mov_b32_e32 v1, s26
	v_add_co_u32_e32 v6, vcc, s25, v6
	v_addc_co_u32_e32 v7, vcc, v1, v7, vcc
	global_load_dword v1, v[6:7], off offset:8
.LBB4_12:
	s_or_b64 exec, exec, s[16:17]
	s_and_saveexec_b64 s[16:17], s[14:15]
	s_cbranch_execz .LBB4_14
; %bb.13:
	v_lshlrev_b64 v[4:5], 2, v[2:3]
	v_mov_b32_e32 v6, s24
	v_add_co_u32_e32 v4, vcc, s23, v4
	v_addc_co_u32_e32 v5, vcc, v6, v5, vcc
	global_load_dword v4, v[4:5], off offset:8
.LBB4_14:
	s_or_b64 exec, exec, s[16:17]
	s_waitcnt vmcnt(0)
	v_add_f32_e32 v4, s22, v4
	ds_write_b32 v31, v1 offset:8
	ds_write_b32 v32, v4 offset:8
	v_or_b32_e32 v1, 3, v2
	v_cmp_le_i32_e32 vcc, s11, v1
	v_cmp_gt_i32_e64 s[10:11], s11, v1
	v_mov_b32_e32 v1, 0
	s_and_saveexec_b64 s[20:21], s[10:11]
	s_cbranch_execz .LBB4_16
; %bb.15:
	v_lshlrev_b64 v[4:5], 2, v[2:3]
	v_mov_b32_e32 v1, s26
	v_add_co_u32_e64 v4, s[16:17], s25, v4
	v_addc_co_u32_e64 v5, s[16:17], v1, v5, s[16:17]
	global_load_dword v1, v[4:5], off offset:12
.LBB4_16:
	s_or_b64 exec, exec, s[20:21]
                                        ; implicit-def: $sgpr20
	s_and_saveexec_b64 s[16:17], vcc
	s_xor_b64 s[16:17], exec, s[16:17]
; %bb.17:
	s_mov_b32 s20, 0
; %bb.18:
	s_or_saveexec_b64 s[16:17], s[16:17]
	s_load_dword s33, s[4:5], 0x10
	s_load_dwordx8 s[60:67], s[4:5], 0x58
	v_mov_b32_e32 v4, s20
	s_xor_b64 exec, exec, s[16:17]
	s_cbranch_execz .LBB4_20
; %bb.19:
	v_lshlrev_b64 v[4:5], 2, v[2:3]
	v_mov_b32_e32 v6, s24
	v_add_co_u32_e32 v4, vcc, s23, v4
	v_addc_co_u32_e32 v5, vcc, v6, v5, vcc
	global_load_dword v4, v[4:5], off offset:12
.LBB4_20:
	s_or_b64 exec, exec, s[16:17]
	s_add_u32 s4, s54, s18
	s_waitcnt vmcnt(0)
	v_add_f32_e32 v4, s22, v4
	s_addc_u32 s5, s55, s19
	ds_write_b32 v31, v1 offset:12
	ds_write_b32 v32, v4 offset:12
	s_waitcnt lgkmcnt(0)
	s_barrier
	s_load_dword s4, s[4:5], 0x0
	ds_read2_b32 v[4:5], v31 offset0:2 offset1:3
	ds_read2_b32 v[6:7], v30 offset0:4 offset1:5
	s_lshl_b32 s46, s38, 3
	s_mul_i32 s76, s40, s70
	s_cmp_lg_u32 s9, 0
	s_mul_i32 s40, s40, s36
	s_mul_i32 s70, s38, s37
	s_waitcnt lgkmcnt(0)
	v_pk_mul_f32 v[4:5], s[4:5], v[4:5] op_sel_hi:[0,1]
	v_pk_mul_f32 v[6:7], s[4:5], v[6:7] op_sel_hi:[0,1]
	s_cselect_b64 s[4:5], -1, 0
	s_add_i32 s70, s70, s40
	s_ashr_i32 s78, s9, 31
	s_add_u32 s79, s64, -4
	s_addc_u32 s80, s65, -1
	s_add_u32 s81, s66, -4
	s_addc_u32 s82, s67, -1
	s_add_u32 s83, s50, 4
	s_addc_u32 s84, s51, 0
	s_add_u32 s85, s52, 4
	v_mbcnt_lo_u32_b32 v1, -1, 0
	s_addc_u32 s86, s53, 0
	v_mbcnt_hi_u32_b32 v1, -1, v1
	s_add_u32 s87, s50, 8
	v_and_b32_e32 v10, 15, v1
	s_addc_u32 s88, s51, 0
	v_cmp_eq_u32_e64 s[16:17], 0, v10
	v_cmp_lt_u32_e64 s[18:19], 1, v10
	v_cmp_lt_u32_e64 s[20:21], 3, v10
	;; [unrolled: 1-line block ×3, first 2 shown]
	v_and_b32_e32 v10, 16, v1
	s_add_u32 s89, s52, 8
	v_cmp_eq_u32_e64 s[24:25], 0, v10
	v_or_b32_e32 v10, 63, v0
	s_addc_u32 s90, s53, 0
	v_cmp_eq_u32_e64 s[28:29], v10, v0
	v_add_u32_e32 v10, -1, v1
	v_and_b32_e32 v11, 64, v1
	s_add_u32 s91, s50, 12
	v_cmp_lt_i32_e32 vcc, v10, v11
	s_addc_u32 s92, s51, 0
	v_cndmask_b32_e32 v10, v10, v1, vcc
	s_add_u32 s93, s52, 12
	v_lshlrev_b32_e32 v33, 2, v10
	v_lshrrev_b32_e32 v10, 3, v0
	s_addc_u32 s94, s53, 0
	s_mul_i32 s8, s8, s33
	s_ashr_i32 s47, s46, 31
	v_and_b32_e32 v10, 8, v10
	s_lshl_b32 s8, s8, 3
	s_lshl_b64 s[36:37], s[46:47], 2
	v_lshlrev_b32_e32 v9, 3, v9
	v_add_u32_e32 v34, 0, v10
	v_and_b32_e32 v10, 1, v1
	s_add_u32 s46, s48, s36
	v_add_u32_e32 v37, 0, v9
	v_lshl_add_u32 v9, v0, 4, 0
	s_mov_b32 s77, 0
	v_cmp_lt_u32_e64 s[26:27], 31, v1
	v_cmp_gt_u32_e64 s[30:31], 2, v0
	v_cmp_lt_u32_e64 s[34:35], 63, v0
	v_lshl_add_u32 v35, v0, 3, 0
	s_addc_u32 s47, s49, s37
	v_cmp_eq_u32_e64 s[36:37], 0, v10
	v_add_u32_e32 v36, -8, v34
	v_add_u32_e32 v38, 0x1010, v9
	v_mov_b32_e32 v39, 0
	v_cmp_eq_u32_e64 s[38:39], 0, v1
	v_cmp_eq_u32_e64 s[40:41], v0, v8
	s_mov_b32 s48, s70
	s_branch .LBB4_22
.LBB4_21:                               ;   in Loop: Header=BB4_22 Depth=1
	s_or_b64 exec, exec, s[54:55]
	s_add_i32 s77, s77, 4
	s_add_i32 s76, s76, s71
	;; [unrolled: 1-line block ×4, first 2 shown]
	v_mov_b32_e32 v8, v9
	s_add_u32 s46, s46, 4
	s_waitcnt vmcnt(4)
	v_pk_fma_f32 v[14:15], v[8:9], v[14:15], v[18:19] op_sel_hi:[0,1,1]
	s_waitcnt vmcnt(0)
	v_pk_fma_f32 v[8:9], v[8:9], v[10:11], v[12:13] op_sel_hi:[0,1,1]
	s_addc_u32 s47, s47, 0
	s_waitcnt lgkmcnt(1)
	v_pk_fma_f32 v[6:7], v[20:21], v[14:15], v[6:7]
	s_waitcnt lgkmcnt(0)
	v_pk_fma_f32 v[4:5], v[16:17], v[8:9], v[4:5]
	s_cmp_eq_u32 s77, 32
	v_add_u32_e32 v38, 0x800, v38
	s_barrier
	s_cbranch_scc1 .LBB4_56
.LBB4_22:                               ; =>This Inner Loop Header: Depth=1
	s_and_saveexec_b64 s[54:55], s[6:7]
	s_cbranch_execz .LBB4_27
; %bb.23:                               ;   in Loop: Header=BB4_22 Depth=1
	s_and_b64 vcc, exec, s[4:5]
	s_cbranch_vccz .LBB4_55
; %bb.24:                               ;   in Loop: Header=BB4_22 Depth=1
	s_ashr_i32 s49, s8, 31
	s_add_u32 s56, s9, s8
	s_addc_u32 s57, s78, s49
	s_lshl_b64 s[56:57], s[56:57], 2
	s_add_u32 s74, s79, s56
	s_addc_u32 s75, s80, s57
	global_load_dword v1, v39, s[74:75]
	s_add_u32 s56, s81, s56
	s_addc_u32 s57, s82, s57
	s_cbranch_execnz .LBB4_26
.LBB4_25:                               ;   in Loop: Header=BB4_22 Depth=1
	s_ashr_i32 s49, s48, 31
	s_lshl_b64 s[56:57], s[48:49], 2
	s_add_u32 s56, s60, s56
	s_addc_u32 s57, s61, s57
	s_waitcnt vmcnt(0)
	v_mov_b32_e32 v1, 1.0
.LBB4_26:                               ;   in Loop: Header=BB4_22 Depth=1
	global_load_dword v8, v39, s[56:57]
	s_add_i32 s49, s77, 0
	v_mov_b32_e32 v9, s49
	v_add_u32_e32 v9, 0x9000, v9
	s_waitcnt vmcnt(0)
	ds_write2_b32 v9, v1, v8 offset0:4 offset1:12
.LBB4_27:                               ;   in Loop: Header=BB4_22 Depth=1
	s_or_b64 exec, exec, s[54:55]
	v_add_u32_e32 v8, s76, v2
	v_mov_b32_e32 v1, 0
	v_ashrrev_i32_e32 v9, 31, v8
	v_mov_b32_e32 v10, 0
	s_and_saveexec_b64 s[54:55], s[44:45]
	s_cbranch_execz .LBB4_29
; %bb.28:                               ;   in Loop: Header=BB4_22 Depth=1
	v_lshlrev_b64 v[10:11], 2, v[8:9]
	v_mov_b32_e32 v12, s51
	v_add_co_u32_e32 v10, vcc, s50, v10
	v_addc_co_u32_e32 v11, vcc, v12, v11, vcc
	global_load_dword v10, v[10:11], off
.LBB4_29:                               ;   in Loop: Header=BB4_22 Depth=1
	s_or_b64 exec, exec, s[54:55]
	s_waitcnt vmcnt(0)
	ds_write_b32 v38, v10
	s_and_saveexec_b64 s[54:55], s[44:45]
	s_cbranch_execz .LBB4_31
; %bb.30:                               ;   in Loop: Header=BB4_22 Depth=1
	v_lshlrev_b64 v[8:9], 2, v[8:9]
	v_mov_b32_e32 v1, s53
	v_add_co_u32_e32 v8, vcc, s52, v8
	v_addc_co_u32_e32 v9, vcc, v1, v9, vcc
	global_load_dword v1, v[8:9], off
.LBB4_31:                               ;   in Loop: Header=BB4_22 Depth=1
	s_or_b64 exec, exec, s[54:55]
	s_waitcnt vmcnt(0)
	ds_write_b32 v38, v1 offset:16384
	v_mov_b32_e32 v1, 0
	v_mov_b32_e32 v8, 0
	s_and_saveexec_b64 s[54:55], s[12:13]
	s_cbranch_execz .LBB4_33
; %bb.32:                               ;   in Loop: Header=BB4_22 Depth=1
	s_ashr_i32 s49, s76, 31
	v_mov_b32_e32 v9, s49
	v_add_co_u32_e32 v8, vcc, s76, v2
	v_addc_co_u32_e32 v9, vcc, v9, v3, vcc
	v_lshlrev_b64 v[8:9], 2, v[8:9]
	v_mov_b32_e32 v10, s84
	v_add_co_u32_e32 v8, vcc, s83, v8
	v_addc_co_u32_e32 v9, vcc, v10, v9, vcc
	global_load_dword v8, v[8:9], off
.LBB4_33:                               ;   in Loop: Header=BB4_22 Depth=1
	s_or_b64 exec, exec, s[54:55]
	s_waitcnt vmcnt(0)
	ds_write_b32 v38, v8 offset:4
	s_and_saveexec_b64 s[54:55], s[12:13]
	s_cbranch_execz .LBB4_35
; %bb.34:                               ;   in Loop: Header=BB4_22 Depth=1
	s_ashr_i32 s49, s76, 31
	v_mov_b32_e32 v1, s49
	v_add_co_u32_e32 v8, vcc, s76, v2
	v_addc_co_u32_e32 v9, vcc, v1, v3, vcc
	v_lshlrev_b64 v[8:9], 2, v[8:9]
	v_mov_b32_e32 v1, s86
	v_add_co_u32_e32 v8, vcc, s85, v8
	v_addc_co_u32_e32 v9, vcc, v1, v9, vcc
	global_load_dword v1, v[8:9], off
.LBB4_35:                               ;   in Loop: Header=BB4_22 Depth=1
	s_or_b64 exec, exec, s[54:55]
	s_waitcnt vmcnt(0)
	ds_write_b32 v38, v1 offset:16388
	v_mov_b32_e32 v1, 0
	v_mov_b32_e32 v8, 0
	s_and_saveexec_b64 s[54:55], s[14:15]
	s_cbranch_execz .LBB4_37
; %bb.36:                               ;   in Loop: Header=BB4_22 Depth=1
	s_ashr_i32 s49, s76, 31
	v_mov_b32_e32 v9, s49
	v_add_co_u32_e32 v8, vcc, s76, v2
	v_addc_co_u32_e32 v9, vcc, v9, v3, vcc
	v_lshlrev_b64 v[8:9], 2, v[8:9]
	v_mov_b32_e32 v10, s88
	v_add_co_u32_e32 v8, vcc, s87, v8
	v_addc_co_u32_e32 v9, vcc, v10, v9, vcc
	global_load_dword v8, v[8:9], off
.LBB4_37:                               ;   in Loop: Header=BB4_22 Depth=1
	s_or_b64 exec, exec, s[54:55]
	s_waitcnt vmcnt(0)
	ds_write_b32 v38, v8 offset:8
	s_and_saveexec_b64 s[54:55], s[14:15]
	s_cbranch_execz .LBB4_39
; %bb.38:                               ;   in Loop: Header=BB4_22 Depth=1
	s_ashr_i32 s49, s76, 31
	v_mov_b32_e32 v1, s49
	v_add_co_u32_e32 v8, vcc, s76, v2
	v_addc_co_u32_e32 v9, vcc, v1, v3, vcc
	v_lshlrev_b64 v[8:9], 2, v[8:9]
	v_mov_b32_e32 v1, s90
	v_add_co_u32_e32 v8, vcc, s89, v8
	v_addc_co_u32_e32 v9, vcc, v1, v9, vcc
	global_load_dword v1, v[8:9], off
.LBB4_39:                               ;   in Loop: Header=BB4_22 Depth=1
	;; [unrolled: 34-line block ×3, first 2 shown]
	s_or_b64 exec, exec, s[54:55]
	s_waitcnt vmcnt(0)
	ds_write_b32 v38, v1 offset:16396
	s_waitcnt lgkmcnt(0)
	s_barrier
	global_load_dword v1, v39, s[46:47]
	v_add_u32_e32 v8, 0x810, v30
	ds_read2_b32 v[10:11], v30 offset0:4 offset1:5
	ds_read2_b32 v[12:13], v32 offset0:2 offset1:3
	;; [unrolled: 1-line block ×3, first 2 shown]
	ds_read2_b32 v[16:17], v38 offset1:1
	ds_read2_b32 v[18:19], v38 offset0:2 offset1:3
	ds_read2_b32 v[22:23], v8 offset1:1
	s_add_i32 s49, s77, 0
	v_mov_b32_e32 v9, s49
	v_add_u32_e32 v8, 0x9000, v9
	s_waitcnt lgkmcnt(1)
	v_mul_f32_e32 v18, v12, v18
	s_waitcnt lgkmcnt(0)
	v_mul_f32_e32 v17, v23, v17
	v_mul_f32_e32 v16, v22, v16
	;; [unrolled: 1-line block ×7, first 2 shown]
	ds_read2_b32 v[8:9], v8 offset0:4 offset1:12
	s_waitcnt vmcnt(0)
	v_mul_f32_e32 v11, v23, v1
	v_mul_f32_e32 v10, v22, v1
	;; [unrolled: 1-line block ×5, first 2 shown]
	v_exp_f32_e32 v20, v11
	v_mul_f32_e32 v1, v13, v1
	v_mul_f32_e32 v12, 0x3fb8aa3b, v12
	v_exp_f32_e32 v10, v10
	v_mul_f32_e32 v1, 0x3fb8aa3b, v1
	v_exp_f32_e32 v24, v12
	v_exp_f32_e32 v25, v1
	v_mul_f32_e32 v11, v40, v20
	v_pk_mul_f32 v[12:13], v[10:11], v[20:21]
	v_pk_add_f32 v[14:15], v[10:11], v[20:21]
	v_fma_f32 v17, v15, v24, v41
	v_mov_b32_e32 v16, v12
	v_mov_b32_e32 v18, v25
	;; [unrolled: 1-line block ×3, first 2 shown]
	v_pk_mul_f32 v[14:15], v[16:17], v[24:25]
	v_pk_fma_f32 v[26:27], v[16:17], v[24:25], v[18:19]
	v_pk_mul_f32 v[22:23], v[14:15], v[18:19]
	s_nop 0
	v_mov_b32_dpp v11, v27 row_shr:1 row_mask:0xf bank_mask:0xf
	v_mov_b32_dpp v13, v22 row_shr:1 row_mask:0xf bank_mask:0xf
	v_fma_f32 v11, v22, v11, v27
	v_mul_f32_e32 v13, v22, v13
	v_cndmask_b32_e64 v11, v11, v27, s[16:17]
	v_cndmask_b32_e64 v13, v13, v22, s[16:17]
	s_nop 0
	v_mov_b32_dpp v15, v11 row_shr:2 row_mask:0xf bank_mask:0xf
	v_mov_b32_dpp v16, v13 row_shr:2 row_mask:0xf bank_mask:0xf
	v_fma_f32 v15, v13, v15, v11
	v_mul_f32_e32 v16, v13, v16
	v_cndmask_b32_e64 v11, v11, v15, s[18:19]
	v_cndmask_b32_e64 v13, v13, v16, s[18:19]
	;; [unrolled: 7-line block ×4, first 2 shown]
	s_nop 0
	v_mov_b32_dpp v15, v11 row_bcast:15 row_mask:0xf bank_mask:0xf
	v_mov_b32_dpp v16, v13 row_bcast:15 row_mask:0xf bank_mask:0xf
	v_fma_f32 v15, v13, v15, v11
	v_mul_f32_e32 v16, v13, v16
	v_cndmask_b32_e64 v15, v15, v11, s[24:25]
	v_cndmask_b32_e64 v16, v16, v13, s[24:25]
	s_nop 0
	v_mov_b32_dpp v11, v15 row_bcast:31 row_mask:0xf bank_mask:0xf
	v_mov_b32_dpp v13, v16 row_bcast:31 row_mask:0xf bank_mask:0xf
	v_fma_f32 v18, v16, v11, v15
	v_mul_f32_e32 v23, v16, v13
	v_cndmask_b32_e64 v11, v15, v18, s[26:27]
	v_cndmask_b32_e64 v13, v16, v23, s[26:27]
	s_and_saveexec_b64 s[54:55], s[28:29]
	s_cbranch_execz .LBB4_45
; %bb.44:                               ;   in Loop: Header=BB4_22 Depth=1
	v_cndmask_b32_e64 v15, v15, v18, s[26:27]
	v_cndmask_b32_e64 v16, v16, v23, s[26:27]
	ds_write2_b32 v34, v16, v15 offset1:1
.LBB4_45:                               ;   in Loop: Header=BB4_22 Depth=1
	s_or_b64 exec, exec, s[54:55]
	s_waitcnt lgkmcnt(0)
	s_barrier
	s_and_saveexec_b64 s[54:55], s[30:31]
	s_cbranch_execz .LBB4_47
; %bb.46:                               ;   in Loop: Header=BB4_22 Depth=1
	ds_read2_b32 v[28:29], v35 offset1:1
	s_waitcnt lgkmcnt(0)
	s_nop 0
	v_mov_b32_dpp v15, v28 row_shr:1 row_mask:0xf bank_mask:0xf
	v_mov_b32_dpp v16, v29 row_shr:1 row_mask:0xf bank_mask:0xf
	v_fma_f32 v16, v28, v16, v29
	v_mul_f32_e32 v15, v28, v15
	v_cndmask_b32_e64 v15, v15, v28, s[36:37]
	v_cndmask_b32_e64 v16, v16, v29, s[36:37]
	ds_write2_b32 v35, v15, v16 offset1:1
.LBB4_47:                               ;   in Loop: Header=BB4_22 Depth=1
	s_or_b64 exec, exec, s[54:55]
	s_waitcnt lgkmcnt(0)
	s_barrier
	s_waitcnt lgkmcnt(0)
                                        ; implicit-def: $vgpr28
	s_and_saveexec_b64 s[54:55], s[34:35]
	s_cbranch_execz .LBB4_49
; %bb.48:                               ;   in Loop: Header=BB4_22 Depth=1
	ds_read2_b32 v[28:29], v36 offset1:1
	s_waitcnt lgkmcnt(0)
	v_mul_f32_e32 v15, v13, v28
	v_fmac_f32_e32 v11, v13, v29
	v_mov_b32_e32 v13, v15
.LBB4_49:                               ;   in Loop: Header=BB4_22 Depth=1
	s_or_b64 exec, exec, s[54:55]
	ds_bpermute_b32 v13, v33, v13
	ds_bpermute_b32 v11, v33, v11
	s_and_saveexec_b64 s[54:55], s[42:43]
	s_xor_b64 s[54:55], exec, s[54:55]
	s_cbranch_execz .LBB4_51
; %bb.50:                               ;   in Loop: Header=BB4_22 Depth=1
	s_waitcnt lgkmcnt(1)
	v_cndmask_b32_e64 v1, v13, v28, s[38:39]
	v_mul_f32_e32 v22, v10, v1
	s_waitcnt lgkmcnt(0)
	v_cndmask_b32_e64 v1, v11, v29, s[38:39]
	v_fmac_f32_e32 v40, v10, v1
	v_fmac_f32_e32 v21, v40, v20
	v_mov_b32_e32 v23, v21
	v_mov_b32_e32 v10, v20
	;; [unrolled: 1-line block ×3, first 2 shown]
	v_pk_mul_f32 v[12:13], v[22:23], v[10:11]
	v_mul_f32_e32 v14, v12, v24
	v_add_f32_e32 v17, v13, v41
	v_mul_f32_e32 v18, v14, v25
	v_fmac_f32_e32 v19, v17, v25
	v_mov_b32_e32 v23, v40
	;;#ASMSTART
	;;#ASMEND
	v_mov_b32_e32 v1, v21
	v_pk_mov_b32 v[10:11], v[22:23], v[22:23] op_sel:[0,1]
	v_pk_mov_b32 v[22:23], v[18:19], v[18:19] op_sel:[0,1]
                                        ; implicit-def: $vgpr26_vgpr27
                                        ; implicit-def: $vgpr40
.LBB4_51:                               ;   in Loop: Header=BB4_22 Depth=1
	s_andn2_saveexec_b64 s[54:55], s[54:55]
	s_cbranch_execz .LBB4_53
; %bb.52:                               ;   in Loop: Header=BB4_22 Depth=1
	v_mov_b32_e32 v23, v27
	s_waitcnt lgkmcnt(0)
	v_mov_b32_e32 v11, v40
.LBB4_53:                               ;   in Loop: Header=BB4_22 Depth=1
	s_or_b64 exec, exec, s[54:55]
	s_waitcnt lgkmcnt(0)
	buffer_store_dword v11, off, s[0:3], 0 offset:4
	buffer_store_dword v10, off, s[0:3], 0
	buffer_store_dword v1, off, s[0:3], 0 offset:12
	buffer_store_dword v12, off, s[0:3], 0 offset:8
	;; [unrolled: 1-line block ×6, first 2 shown]
	s_barrier
	buffer_load_dword v14, off, s[0:3], 0
	buffer_load_dword v18, off, s[0:3], 0 offset:4
	buffer_load_dword v15, off, s[0:3], 0 offset:8
	;; [unrolled: 1-line block ×7, first 2 shown]
	v_add_u32_e32 v1, 0x4000, v38
	v_add_u32_e32 v16, 0x4008, v38
	ds_read2_b32 v[20:21], v1 offset1:1
	ds_read2_b32 v[16:17], v16 offset1:1
	s_and_saveexec_b64 s[54:55], s[40:41]
	s_cbranch_execz .LBB4_21
; %bb.54:                               ;   in Loop: Header=BB4_22 Depth=1
	buffer_load_dword v1, v37, s[0:3], 0 offen
	buffer_load_dword v22, v37, s[0:3], 0 offen offset:4
	s_add_i32 s56, s9, s8
	s_ashr_i32 s57, s56, 31
	s_lshl_b64 s[56:57], s[56:57], 2
	s_add_u32 s74, s64, s56
	v_mov_b32_e32 v23, s49
	s_addc_u32 s75, s65, s57
	v_add_u32_e32 v23, 0x9000, v23
	s_add_u32 s56, s66, s56
	s_addc_u32 s57, s67, s57
	s_waitcnt vmcnt(1)
	v_mul_f32_e32 v8, v8, v1
	s_waitcnt vmcnt(0)
	v_fmac_f32_e32 v22, v9, v1
	global_store_dword v39, v8, s[74:75]
	global_store_dword v39, v22, s[56:57]
	ds_write2_b32 v23, v8, v22 offset0:4 offset1:12
	s_branch .LBB4_21
.LBB4_55:                               ;   in Loop: Header=BB4_22 Depth=1
                                        ; implicit-def: $sgpr56_sgpr57
                                        ; implicit-def: $vgpr1
	s_branch .LBB4_25
.LBB4_56:
	s_add_u32 s4, s58, s72
	s_addc_u32 s5, s59, s73
	s_add_u32 s8, s4, s68
	s_addc_u32 s16, s5, s69
	;; [unrolled: 2-line block ×4, first 2 shown]
	v_lshlrev_b64 v[2:3], 2, v[2:3]
	s_and_saveexec_b64 s[4:5], s[44:45]
	s_cbranch_execnz .LBB4_64
; %bb.57:
	s_or_b64 exec, exec, s[4:5]
	s_and_saveexec_b64 s[4:5], s[12:13]
	s_cbranch_execnz .LBB4_65
.LBB4_58:
	s_or_b64 exec, exec, s[4:5]
	s_and_saveexec_b64 s[4:5], s[14:15]
	s_cbranch_execnz .LBB4_66
.LBB4_59:
	s_or_b64 exec, exec, s[4:5]
	s_and_saveexec_b64 s[4:5], s[10:11]
	s_cbranch_execz .LBB4_61
.LBB4_60:
	v_mov_b32_e32 v1, s16
	v_add_co_u32_e32 v6, vcc, s8, v2
	v_addc_co_u32_e32 v7, vcc, v1, v3, vcc
	global_load_dword v1, v[6:7], off offset:12
	v_mov_b32_e32 v8, s7
	s_waitcnt vmcnt(0)
	v_mul_f32_e32 v4, 0xbfb8aa3b, v1
	v_exp_f32_e32 v4, v4
	v_add_f32_e32 v4, 1.0, v4
	v_div_scale_f32 v6, s[10:11], v4, v4, v1
	v_rcp_f32_e32 v7, v6
	v_div_scale_f32 v9, vcc, v1, v4, v1
	v_fma_f32 v10, -v6, v7, 1.0
	v_fmac_f32_e32 v7, v10, v7
	v_mul_f32_e32 v10, v9, v7
	v_fma_f32 v11, -v6, v10, v9
	v_fmac_f32_e32 v10, v11, v7
	v_fma_f32 v6, -v6, v10, v9
	v_div_fmas_f32 v6, v6, v7, v10
	v_div_fixup_f32 v1, v6, v4, v1
	v_add_co_u32_e32 v2, vcc, s6, v2
	v_mul_f32_e32 v1, v5, v1
	v_addc_co_u32_e32 v3, vcc, v8, v3, vcc
	global_store_dword v[2:3], v1, off offset:12
.LBB4_61:
	s_or_b64 exec, exec, s[4:5]
	s_add_i32 s33, s33, -1
	s_cmp_eq_u32 s9, s33
	s_cselect_b64 s[4:5], -1, 0
	v_cmp_gt_u32_e32 vcc, 8, v0
	s_and_b64 s[4:5], vcc, s[4:5]
	s_and_saveexec_b64 s[6:7], s[4:5]
	s_cbranch_execz .LBB4_63
; %bb.62:
	v_lshl_add_u32 v1, v0, 2, 0
	ds_read_b32 v2, v1 offset:36912
	v_add_u32_e32 v0, s70, v0
	v_ashrrev_i32_e32 v1, 31, v0
	v_lshlrev_b64 v[0:1], 2, v[0:1]
	v_mov_b32_e32 v3, s61
	v_add_co_u32_e32 v0, vcc, s60, v0
	v_addc_co_u32_e32 v1, vcc, v3, v1, vcc
	s_waitcnt lgkmcnt(0)
	global_store_dword v[0:1], v2, off
.LBB4_63:
	s_endpgm
.LBB4_64:
	v_mov_b32_e32 v1, s16
	v_add_co_u32_e32 v8, vcc, s8, v2
	v_addc_co_u32_e32 v9, vcc, v1, v3, vcc
	global_load_dword v1, v[8:9], off
	v_mov_b32_e32 v11, s7
	s_waitcnt vmcnt(0)
	v_mul_f32_e32 v8, 0xbfb8aa3b, v1
	v_exp_f32_e32 v8, v8
	v_add_f32_e32 v8, 1.0, v8
	v_div_scale_f32 v9, s[18:19], v8, v8, v1
	v_rcp_f32_e32 v10, v9
	v_div_scale_f32 v12, vcc, v1, v8, v1
	v_fma_f32 v13, -v9, v10, 1.0
	v_fmac_f32_e32 v10, v13, v10
	v_mul_f32_e32 v13, v12, v10
	v_fma_f32 v14, -v9, v13, v12
	v_fmac_f32_e32 v13, v14, v10
	v_fma_f32 v9, -v9, v13, v12
	v_div_fmas_f32 v9, v9, v10, v13
	v_div_fixup_f32 v1, v9, v8, v1
	v_add_co_u32_e32 v8, vcc, s6, v2
	v_mul_f32_e32 v1, v6, v1
	v_addc_co_u32_e32 v9, vcc, v11, v3, vcc
	global_store_dword v[8:9], v1, off
	s_or_b64 exec, exec, s[4:5]
	s_and_saveexec_b64 s[4:5], s[12:13]
	s_cbranch_execz .LBB4_58
.LBB4_65:
	v_mov_b32_e32 v1, s16
	v_add_co_u32_e32 v8, vcc, s8, v2
	v_addc_co_u32_e32 v9, vcc, v1, v3, vcc
	global_load_dword v1, v[8:9], off offset:4
	v_mov_b32_e32 v10, s7
	s_waitcnt vmcnt(0)
	v_mul_f32_e32 v6, 0xbfb8aa3b, v1
	v_exp_f32_e32 v6, v6
	v_add_f32_e32 v6, 1.0, v6
	v_div_scale_f32 v8, s[12:13], v6, v6, v1
	v_rcp_f32_e32 v9, v8
	v_div_scale_f32 v11, vcc, v1, v6, v1
	v_fma_f32 v12, -v8, v9, 1.0
	v_fmac_f32_e32 v9, v12, v9
	v_mul_f32_e32 v12, v11, v9
	v_fma_f32 v13, -v8, v12, v11
	v_fmac_f32_e32 v12, v13, v9
	v_fma_f32 v8, -v8, v12, v11
	v_div_fmas_f32 v8, v8, v9, v12
	v_div_fixup_f32 v1, v8, v6, v1
	v_add_co_u32_e32 v6, vcc, s6, v2
	v_mul_f32_e32 v1, v7, v1
	v_addc_co_u32_e32 v7, vcc, v10, v3, vcc
	global_store_dword v[6:7], v1, off offset:4
	s_or_b64 exec, exec, s[4:5]
	s_and_saveexec_b64 s[4:5], s[14:15]
	s_cbranch_execz .LBB4_59
.LBB4_66:
	v_mov_b32_e32 v1, s16
	v_add_co_u32_e32 v6, vcc, s8, v2
	v_addc_co_u32_e32 v7, vcc, v1, v3, vcc
	global_load_dword v1, v[6:7], off offset:8
	v_mov_b32_e32 v9, s7
	s_waitcnt vmcnt(0)
	v_mul_f32_e32 v6, 0xbfb8aa3b, v1
	v_exp_f32_e32 v6, v6
	v_add_f32_e32 v6, 1.0, v6
	v_div_scale_f32 v7, s[12:13], v6, v6, v1
	v_rcp_f32_e32 v8, v7
	v_div_scale_f32 v10, vcc, v1, v6, v1
	v_fma_f32 v11, -v7, v8, 1.0
	v_fmac_f32_e32 v8, v11, v8
	v_mul_f32_e32 v11, v10, v8
	v_fma_f32 v12, -v7, v11, v10
	v_fmac_f32_e32 v11, v12, v8
	v_fma_f32 v7, -v7, v11, v10
	v_div_fmas_f32 v7, v7, v8, v11
	v_div_fixup_f32 v1, v7, v6, v1
	v_add_co_u32_e32 v6, vcc, s6, v2
	v_mul_f32_e32 v1, v4, v1
	v_addc_co_u32_e32 v7, vcc, v9, v3, vcc
	global_store_dword v[6:7], v1, off offset:8
	s_or_b64 exec, exec, s[4:5]
	s_and_saveexec_b64 s[4:5], s[10:11]
	s_cbranch_execnz .LBB4_60
	s_branch .LBB4_61
	.section	.rodata,"a",@progbits
	.p2align	6, 0x0
	.amdhsa_kernel _Z26selective_scan_vllm_kernelI18SSMFwdKernelTraitsILi128ELi4ELi8ELb1ELb0ELb0EEEv13SSMParamsBase
		.amdhsa_group_segment_fixed_size 0
		.amdhsa_private_segment_fixed_size 48
		.amdhsa_kernarg_size 144
		.amdhsa_user_sgpr_count 8
		.amdhsa_user_sgpr_private_segment_buffer 1
		.amdhsa_user_sgpr_dispatch_ptr 0
		.amdhsa_user_sgpr_queue_ptr 0
		.amdhsa_user_sgpr_kernarg_segment_ptr 1
		.amdhsa_user_sgpr_dispatch_id 0
		.amdhsa_user_sgpr_flat_scratch_init 1
		.amdhsa_user_sgpr_kernarg_preload_length 0
		.amdhsa_user_sgpr_kernarg_preload_offset 0
		.amdhsa_user_sgpr_private_segment_size 0
		.amdhsa_uses_dynamic_stack 0
		.amdhsa_system_sgpr_private_segment_wavefront_offset 1
		.amdhsa_system_sgpr_workgroup_id_x 1
		.amdhsa_system_sgpr_workgroup_id_y 1
		.amdhsa_system_sgpr_workgroup_id_z 0
		.amdhsa_system_sgpr_workgroup_info 0
		.amdhsa_system_vgpr_workitem_id 0
		.amdhsa_next_free_vgpr 42
		.amdhsa_next_free_sgpr 95
		.amdhsa_accum_offset 44
		.amdhsa_reserve_vcc 1
		.amdhsa_reserve_flat_scratch 0
		.amdhsa_float_round_mode_32 0
		.amdhsa_float_round_mode_16_64 0
		.amdhsa_float_denorm_mode_32 3
		.amdhsa_float_denorm_mode_16_64 3
		.amdhsa_dx10_clamp 1
		.amdhsa_ieee_mode 1
		.amdhsa_fp16_overflow 0
		.amdhsa_tg_split 0
		.amdhsa_exception_fp_ieee_invalid_op 0
		.amdhsa_exception_fp_denorm_src 0
		.amdhsa_exception_fp_ieee_div_zero 0
		.amdhsa_exception_fp_ieee_overflow 0
		.amdhsa_exception_fp_ieee_underflow 0
		.amdhsa_exception_fp_ieee_inexact 0
		.amdhsa_exception_int_div_zero 0
	.end_amdhsa_kernel
	.section	.text._Z26selective_scan_vllm_kernelI18SSMFwdKernelTraitsILi128ELi4ELi8ELb1ELb0ELb0EEEv13SSMParamsBase,"axG",@progbits,_Z26selective_scan_vllm_kernelI18SSMFwdKernelTraitsILi128ELi4ELi8ELb1ELb0ELb0EEEv13SSMParamsBase,comdat
.Lfunc_end4:
	.size	_Z26selective_scan_vllm_kernelI18SSMFwdKernelTraitsILi128ELi4ELi8ELb1ELb0ELb0EEEv13SSMParamsBase, .Lfunc_end4-_Z26selective_scan_vllm_kernelI18SSMFwdKernelTraitsILi128ELi4ELi8ELb1ELb0ELb0EEEv13SSMParamsBase
                                        ; -- End function
	.section	.AMDGPU.csdata,"",@progbits
; Kernel info:
; codeLenInByte = 4016
; NumSgprs: 99
; NumVgprs: 42
; NumAgprs: 0
; TotalNumVgprs: 42
; ScratchSize: 48
; MemoryBound: 0
; FloatMode: 240
; IeeeMode: 1
; LDSByteSize: 0 bytes/workgroup (compile time only)
; SGPRBlocks: 12
; VGPRBlocks: 5
; NumSGPRsForWavesPerEU: 99
; NumVGPRsForWavesPerEU: 42
; AccumOffset: 44
; Occupancy: 8
; WaveLimiterHint : 0
; COMPUTE_PGM_RSRC2:SCRATCH_EN: 1
; COMPUTE_PGM_RSRC2:USER_SGPR: 8
; COMPUTE_PGM_RSRC2:TRAP_HANDLER: 0
; COMPUTE_PGM_RSRC2:TGID_X_EN: 1
; COMPUTE_PGM_RSRC2:TGID_Y_EN: 1
; COMPUTE_PGM_RSRC2:TGID_Z_EN: 0
; COMPUTE_PGM_RSRC2:TIDIG_COMP_CNT: 0
; COMPUTE_PGM_RSRC3_GFX90A:ACCUM_OFFSET: 10
; COMPUTE_PGM_RSRC3_GFX90A:TG_SPLIT: 0
	.section	.text._Z26selective_scan_vllm_kernelI18SSMFwdKernelTraitsILi128ELi4ELi8ELb0ELb1ELb1EEEv13SSMParamsBase,"axG",@progbits,_Z26selective_scan_vllm_kernelI18SSMFwdKernelTraitsILi128ELi4ELi8ELb0ELb1ELb1EEEv13SSMParamsBase,comdat
	.protected	_Z26selective_scan_vllm_kernelI18SSMFwdKernelTraitsILi128ELi4ELi8ELb0ELb1ELb1EEEv13SSMParamsBase ; -- Begin function _Z26selective_scan_vllm_kernelI18SSMFwdKernelTraitsILi128ELi4ELi8ELb0ELb1ELb1EEEv13SSMParamsBase
	.globl	_Z26selective_scan_vllm_kernelI18SSMFwdKernelTraitsILi128ELi4ELi8ELb0ELb1ELb1EEEv13SSMParamsBase
	.p2align	8
	.type	_Z26selective_scan_vllm_kernelI18SSMFwdKernelTraitsILi128ELi4ELi8ELb0ELb1ELb1EEEv13SSMParamsBase,@function
_Z26selective_scan_vllm_kernelI18SSMFwdKernelTraitsILi128ELi4ELi8ELb0ELb1ELb1EEEv13SSMParamsBase: ; @_Z26selective_scan_vllm_kernelI18SSMFwdKernelTraitsILi128ELi4ELi8ELb0ELb1ELb1EEEv13SSMParamsBase
; %bb.0:
	s_load_dword s14, s[4:5], 0x4
	s_load_dword s33, s[4:5], 0x10
	s_load_dwordx8 s[44:51], s[4:5], 0x18
	s_add_u32 s0, s0, s10
	s_addc_u32 s1, s1, 0
	s_waitcnt lgkmcnt(0)
	s_abs_i32 s15, s14
	v_cvt_f32_u32_e32 v1, s15
	s_load_dwordx4 s[52:55], s[4:5], 0x38
	s_load_dwordx2 s[10:11], s[4:5], 0x48
	s_load_dwordx8 s[36:43], s[4:5], 0x58
	s_load_dwordx2 s[26:27], s[4:5], 0x88
	s_load_dwordx4 s[56:59], s[4:5], 0x78
	s_sub_i32 s4, 0, s15
	v_rcp_iflag_f32_e32 v1, v1
	s_abs_i32 s17, s8
	s_ashr_i32 s16, s8, 31
	s_ashr_i32 s18, s14, 31
	v_mul_f32_e32 v1, 0x4f7ffffe, v1
	v_cvt_u32_f32_e32 v1, v1
	v_cmp_eq_u32_e64 s[6:7], 0, v0
	v_readfirstlane_b32 s5, v1
	s_mul_i32 s4, s4, s5
	s_mul_hi_u32 s4, s5, s4
	s_add_i32 s5, s5, s4
	s_mul_hi_u32 s19, s17, s5
	v_cmp_ne_u32_e64 s[4:5], 0, v0
	s_and_saveexec_b64 s[12:13], s[6:7]
	s_cbranch_execz .LBB5_2
; %bb.1:
	v_mov_b32_e32 v2, 0x7f
	v_mov_b32_e32 v3, 3
	;; [unrolled: 1-line block ×3, first 2 shown]
	ds_write_b64 v1, v[2:3] offset:36944
.LBB5_2:
	s_or_b64 exec, exec, s[12:13]
	s_mul_i32 s13, s19, s15
	s_sub_i32 s13, s17, s13
	s_xor_b32 s12, s16, s18
	s_add_i32 s16, s19, 1
	s_sub_i32 s17, s13, s15
	s_cmp_ge_u32 s13, s15
	s_cselect_b32 s16, s16, s19
	s_cselect_b32 s13, s17, s13
	s_add_i32 s17, s16, 1
	s_cmp_ge_u32 s13, s15
	s_cselect_b32 s13, s17, s16
	s_xor_b32 s13, s13, s12
	s_sub_i32 s30, s13, s12
	s_mul_i32 s12, s30, s14
	s_sub_i32 s28, s8, s12
	s_waitcnt lgkmcnt(0)
	s_mul_i32 s12, s30, s56
	s_ashr_i32 s13, s12, 31
	s_lshl_b32 s62, s9, 9
	s_lshl_b64 s[60:61], s[12:13], 2
	s_add_u32 s14, s44, s60
	s_mul_i32 s12, s28, s57
	s_addc_u32 s15, s45, s61
	s_ashr_i32 s13, s12, 31
	s_lshl_b64 s[44:45], s[12:13], 2
	s_add_u32 s12, s14, s44
	s_addc_u32 s13, s15, s45
	s_add_u32 s14, s46, s60
	v_lshlrev_b32_e32 v1, 2, v0
	s_addc_u32 s15, s47, s61
	v_or_b32_e32 v2, s62, v1
	s_add_u32 s14, s14, s44
	v_ashrrev_i32_e32 v3, 31, v2
	s_addc_u32 s15, s15, s45
	v_lshlrev_b64 v[6:7], 2, v[2:3]
	v_mov_b32_e32 v3, s15
	v_add_co_u32_e32 v2, vcc, s14, v6
	v_addc_co_u32_e32 v3, vcc, v3, v7, vcc
	s_barrier
	global_load_dwordx4 v[2:5], v[2:3], off
	v_mov_b32_e32 v9, s13
	v_add_co_u32_e32 v8, vcc, s12, v6
	v_addc_co_u32_e32 v9, vcc, v9, v7, vcc
	global_load_dwordx4 v[8:11], v[8:9], off
	s_ashr_i32 s29, s28, 31
	s_lshl_b64 s[16:17], s[28:29], 2
	s_add_u32 s10, s10, s16
	s_addc_u32 s11, s11, s17
	s_load_dword s10, s[10:11], 0x0
	s_add_i32 s11, 0, 0x810
	v_lshlrev_b32_e32 v14, 4, v0
	v_add_u32_e32 v33, 0, v14
	v_add3_u32 v34, 0, 16, v14
	v_add_u32_e32 v36, s11, v14
	v_mov_b32_e32 v32, 0
	s_mov_b32 s14, 0x800000
	ds_read_b64 v[12:13], v32 offset:36944
	v_mov_b32_e32 v18, 0x4f800000
	s_mov_b32 s19, 0x3f317217
	s_mov_b32 s20, 0x7f800000
	v_mov_b32_e32 v19, 0x41b17218
	s_mov_b32 s18, 0x41a00000
	v_add_u32_e32 v35, 0x810, v33
	s_mul_i32 s8, s8, s33
	s_mov_b32 s66, 0
	v_cmp_gt_u32_e64 s[22:23], 2, v0
	v_cmp_lt_u32_e64 s[24:25], 63, v0
	v_lshl_add_u32 v39, v0, 3, 0
	v_add_u32_e32 v42, 0x1010, v33
	s_waitcnt vmcnt(0)
	ds_write2_b32 v33, v8, v9 offset0:4 offset1:5
	ds_write2_b32 v34, v10, v11 offset0:2 offset1:3
	s_waitcnt lgkmcnt(0)
	v_pk_add_f32 v[2:3], v[2:3], s[10:11] op_sel_hi:[1,0]
	v_mul_f32_e32 v14, 0x3fb8aa3b, v2
	v_mul_f32_e32 v15, 0x3fb8aa3b, v3
	v_pk_add_f32 v[4:5], v[4:5], s[10:11] op_sel_hi:[1,0]
	v_exp_f32_e32 v14, v14
	v_exp_f32_e32 v15, v15
	v_mul_f32_e32 v16, 0x3fb8aa3b, v4
	v_mul_f32_e32 v17, 0x3fb8aa3b, v5
	v_exp_f32_e32 v16, v16
	v_exp_f32_e32 v17, v17
	v_pk_add_f32 v[8:9], v[14:15], 1.0 op_sel_hi:[1,0]
	v_cmp_gt_f32_e32 vcc, s14, v8
	v_cndmask_b32_e32 v14, 1.0, v18, vcc
	v_pk_add_f32 v[10:11], v[16:17], 1.0 op_sel_hi:[1,0]
	v_cmp_gt_f32_e64 s[10:11], s14, v9
	v_cndmask_b32_e64 v15, 1.0, v18, s[10:11]
	v_cmp_gt_f32_e64 s[12:13], s14, v10
	v_mul_f32_e32 v8, v8, v14
	v_cndmask_b32_e64 v16, 1.0, v18, s[12:13]
	v_mul_f32_e32 v9, v9, v15
	v_log_f32_e32 v8, v8
	v_mul_f32_e32 v10, v10, v16
	v_log_f32_e32 v9, v9
	v_log_f32_e32 v10, v10
	v_cmp_gt_f32_e64 s[14:15], s14, v11
	v_cndmask_b32_e64 v17, 1.0, v18, s[14:15]
	v_mul_f32_e32 v16, 0x3f317217, v8
	v_mul_f32_e32 v11, v11, v17
	;; [unrolled: 1-line block ×3, first 2 shown]
	v_fma_f32 v16, v8, s19, -v16
	v_mul_f32_e32 v18, 0x3f317217, v10
	v_fma_f32 v17, v9, s19, -v17
	v_fmac_f32_e32 v16, 0x3377d1cf, v8
	v_cndmask_b32_e32 v14, 0, v19, vcc
	v_fma_f32 v18, v10, s19, -v18
	v_fmac_f32_e32 v17, 0x3377d1cf, v9
	v_fmac_f32_e32 v16, 0x3f317217, v8
	v_cmp_lt_f32_e64 vcc, |v8|, s20
	v_fmac_f32_e32 v18, 0x3377d1cf, v10
	v_fmac_f32_e32 v17, 0x3f317217, v9
	v_cndmask_b32_e32 v8, v8, v16, vcc
	v_cmp_lt_f32_e64 vcc, |v9|, s20
	v_cndmask_b32_e64 v15, 0, v19, s[10:11]
	v_log_f32_e32 v11, v11
	v_fmac_f32_e32 v18, 0x3f317217, v10
	v_cndmask_b32_e32 v9, v9, v17, vcc
	v_cmp_lt_f32_e64 vcc, |v10|, s20
	v_cndmask_b32_e32 v10, v10, v18, vcc
	v_sub_f32_e32 v9, v9, v15
	v_cmp_lt_f32_e32 vcc, s18, v3
	v_sub_f32_e32 v8, v8, v14
	v_cndmask_b32_e32 v3, v9, v3, vcc
	v_cmp_lt_f32_e32 vcc, s18, v2
	v_cndmask_b32_e32 v2, v8, v2, vcc
	ds_write2_b32 v35, v2, v3 offset1:1
	v_mul_f32_e32 v3, 0x3f317217, v11
	v_fma_f32 v3, v11, s19, -v3
	v_fmac_f32_e32 v3, 0x3377d1cf, v11
	v_fmac_f32_e32 v3, 0x3f317217, v11
	v_cmp_lt_f32_e64 vcc, |v11|, s20
	v_cndmask_b32_e32 v3, v11, v3, vcc
	v_cndmask_b32_e64 v8, 0, v19, s[14:15]
	v_cndmask_b32_e64 v2, 0, v19, s[12:13]
	v_sub_f32_e32 v3, v3, v8
	v_cmp_lt_f32_e32 vcc, s18, v5
	v_sub_f32_e32 v2, v10, v2
	v_cndmask_b32_e32 v3, v3, v5, vcc
	v_cmp_lt_f32_e32 vcc, s18, v4
	s_add_u32 s10, s54, s16
	v_cndmask_b32_e32 v2, v2, v4, vcc
	s_addc_u32 s11, s55, s17
	ds_write2_b32 v36, v2, v3 offset0:2 offset1:3
	s_waitcnt lgkmcnt(0)
	s_barrier
	s_load_dword s10, s[10:11], 0x0
	ds_read2_b32 v[2:3], v34 offset0:2 offset1:3
	ds_read2_b32 v[8:9], v33 offset0:4 offset1:5
	s_lshl_b32 s54, s28, 3
	s_mul_i32 s55, s30, s58
	s_cmp_lg_u32 s9, 0
	s_waitcnt lgkmcnt(0)
	v_pk_mul_f32 v[4:5], s[10:11], v[2:3] op_sel_hi:[0,1]
	v_pk_mul_f32 v[2:3], s[10:11], v[8:9] op_sel_hi:[0,1]
	v_mbcnt_lo_u32_b32 v8, -1, 0
	v_mbcnt_hi_u32_b32 v8, -1, v8
	v_and_b32_e32 v9, 15, v8
	v_cmp_eq_u32_e64 s[34:35], 0, v9
	v_cmp_lt_u32_e64 s[10:11], 1, v9
	v_cmp_lt_u32_e64 s[12:13], 3, v9
	;; [unrolled: 1-line block ×3, first 2 shown]
	v_and_b32_e32 v9, 16, v8
	v_cmp_eq_u32_e64 s[16:17], 0, v9
	v_or_b32_e32 v9, 63, v0
	v_cmp_eq_u32_e64 s[20:21], v9, v0
	v_add_u32_e32 v9, -1, v8
	v_and_b32_e32 v10, 64, v8
	s_mul_i32 s30, s30, s26
	s_mul_i32 s58, s28, s27
	v_cmp_lt_i32_e32 vcc, v9, v10
	s_cselect_b64 s[46:47], -1, 0
	s_add_i32 s58, s58, s30
	s_ashr_i32 s67, s9, 31
	v_cndmask_b32_e32 v9, v9, v8, vcc
	s_add_u32 s68, s40, -4
	v_lshlrev_b32_e32 v37, 2, v9
	v_lshrrev_b32_e32 v9, 3, v0
	s_addc_u32 s69, s41, -1
	v_and_b32_e32 v9, 8, v9
	s_add_u32 s70, s42, -4
	v_cmp_lt_u32_e64 s[18:19], 31, v8
	v_add_u32_e32 v38, 0, v9
	v_and_b32_e32 v9, 1, v8
	v_cmp_eq_u32_e64 s[28:29], 0, v8
	v_lshlrev_b32_e32 v8, 3, v13
	s_addc_u32 s71, s43, -1
	s_add_i32 s55, s55, s62
	v_add_u32_e32 v41, 0, v8
	v_add_u32_e32 v8, s55, v1
	s_ashr_i32 s55, s54, 31
	s_lshl_b32 s8, s8, 3
	s_lshl_b64 s[54:55], s[54:55], 2
	s_add_u32 s48, s48, s54
	v_cmp_eq_u32_e64 s[26:27], 0, v9
	v_add_u32_e32 v40, -8, v38
	v_cmp_eq_u32_e64 s[30:31], v0, v12
	s_addc_u32 s49, s49, s55
	s_add_i32 s72, 0, 0x9010
	s_mov_b32 s54, s58
	s_branch .LBB5_4
.LBB5_3:                                ;   in Loop: Header=BB5_4 Depth=1
	s_or_b64 exec, exec, s[56:57]
	s_add_i32 s72, s72, 4
	s_addk_i32 s66, 0x800
	s_add_i32 s54, s54, 1
	s_add_i32 s8, s8, s33
	v_mov_b32_e32 v10, v11
	s_add_u32 s48, s48, 4
	s_waitcnt vmcnt(4)
	v_pk_fma_f32 v[18:19], v[10:11], v[18:19], v[20:21] op_sel_hi:[0,1,1]
	s_waitcnt vmcnt(0)
	v_pk_fma_f32 v[10:11], v[10:11], v[12:13], v[14:15] op_sel_hi:[0,1,1]
	s_addc_u32 s49, s49, 0
	s_waitcnt lgkmcnt(1)
	v_pk_fma_f32 v[2:3], v[22:23], v[18:19], v[2:3]
	s_waitcnt lgkmcnt(0)
	v_pk_fma_f32 v[4:5], v[16:17], v[10:11], v[4:5]
	s_cmpk_eq_i32 s66, 0x4000
	v_add_u32_e32 v8, s59, v8
	s_barrier
	s_cbranch_scc1 .LBB5_22
.LBB5_4:                                ; =>This Inner Loop Header: Depth=1
	s_and_saveexec_b64 s[56:57], s[6:7]
	s_cbranch_execz .LBB5_9
; %bb.5:                                ;   in Loop: Header=BB5_4 Depth=1
	s_and_b64 vcc, exec, s[46:47]
	s_cbranch_vccz .LBB5_21
; %bb.6:                                ;   in Loop: Header=BB5_4 Depth=1
	s_ashr_i32 s55, s8, 31
	s_add_u32 s62, s9, s8
	s_addc_u32 s63, s67, s55
	s_lshl_b64 s[62:63], s[62:63], 2
	s_add_u32 s64, s68, s62
	s_addc_u32 s65, s69, s63
	global_load_dword v1, v32, s[64:65]
	s_add_u32 s62, s70, s62
	s_addc_u32 s63, s71, s63
	s_cbranch_execnz .LBB5_8
.LBB5_7:                                ;   in Loop: Header=BB5_4 Depth=1
	s_ashr_i32 s55, s54, 31
	s_lshl_b64 s[62:63], s[54:55], 2
	s_add_u32 s62, s36, s62
	s_addc_u32 s63, s37, s63
	s_waitcnt vmcnt(0)
	v_mov_b32_e32 v1, 1.0
.LBB5_8:                                ;   in Loop: Header=BB5_4 Depth=1
	global_load_dword v9, v32, s[62:63]
	v_mov_b32_e32 v10, s72
	s_waitcnt vmcnt(0)
	ds_write2_b32 v10, v1, v9 offset1:8
.LBB5_9:                                ;   in Loop: Header=BB5_4 Depth=1
	s_or_b64 exec, exec, s[56:57]
	v_ashrrev_i32_e32 v9, 31, v8
	v_lshlrev_b64 v[14:15], 2, v[8:9]
	v_mov_b32_e32 v1, s51
	v_add_co_u32_e32 v10, vcc, s50, v14
	v_addc_co_u32_e32 v11, vcc, v1, v15, vcc
	v_mov_b32_e32 v1, s53
	v_add_co_u32_e32 v14, vcc, s52, v14
	global_load_dwordx4 v[10:13], v[10:11], off
	v_addc_co_u32_e32 v15, vcc, v1, v15, vcc
	global_load_dwordx4 v[14:17], v[14:15], off
	v_add_u32_e32 v1, s66, v42
	v_add_u32_e32 v9, 0x4000, v1
	;; [unrolled: 1-line block ×3, first 2 shown]
	s_waitcnt vmcnt(1)
	ds_write2_b32 v1, v10, v11 offset1:1
	s_waitcnt vmcnt(0)
	ds_write2_b32 v9, v14, v15 offset1:1
	ds_write2_b32 v1, v12, v13 offset0:2 offset1:3
	ds_write2_b32 v43, v16, v17 offset1:1
	s_waitcnt lgkmcnt(0)
	s_barrier
	global_load_dword v22, v32, s[48:49]
	v_mov_b32_e32 v10, s72
	ds_read2_b32 v[10:11], v10 offset1:8
	ds_read2_b32 v[12:13], v35 offset1:1
	;; [unrolled: 1-line block ×3, first 2 shown]
	ds_read2_b32 v[16:17], v1 offset0:2 offset1:3
	ds_read2_b32 v[18:19], v36 offset0:2 offset1:3
	;; [unrolled: 1-line block ×4, first 2 shown]
	s_waitcnt lgkmcnt(4)
	v_mul_f32_e32 v1, v12, v14
	v_mul_f32_e32 v14, v13, v15
	s_waitcnt lgkmcnt(2)
	v_mul_f32_e32 v15, v18, v16
	s_waitcnt lgkmcnt(1)
	v_mul_f32_e32 v44, v20, v1
	v_mul_f32_e32 v23, v21, v14
	;; [unrolled: 1-line block ×3, first 2 shown]
	s_waitcnt lgkmcnt(0)
	v_mul_f32_e32 v45, v24, v15
	v_mul_f32_e32 v21, v25, v16
	s_waitcnt vmcnt(0)
	v_mul_f32_e32 v1, v12, v22
	v_mul_f32_e32 v12, v13, v22
	;; [unrolled: 1-line block ×6, first 2 shown]
	v_exp_f32_e32 v22, v12
	v_mul_f32_e32 v13, 0x3fb8aa3b, v13
	v_exp_f32_e32 v12, v1
	v_mul_f32_e32 v14, 0x3fb8aa3b, v14
	v_exp_f32_e32 v26, v13
	v_exp_f32_e32 v27, v14
	v_mul_f32_e32 v13, v44, v22
	v_pk_mul_f32 v[14:15], v[12:13], v[22:23]
	v_pk_add_f32 v[16:17], v[12:13], v[22:23]
	v_fma_f32 v19, v17, v26, v45
	v_mov_b32_e32 v18, v14
	v_mov_b32_e32 v20, v27
	v_mov_b32_e32 v1, v17
	v_pk_mul_f32 v[16:17], v[18:19], v[26:27]
	v_pk_fma_f32 v[28:29], v[18:19], v[26:27], v[20:21]
	v_pk_mul_f32 v[24:25], v[16:17], v[20:21]
	s_nop 0
	v_mov_b32_dpp v13, v29 row_shr:1 row_mask:0xf bank_mask:0xf
	v_mov_b32_dpp v15, v24 row_shr:1 row_mask:0xf bank_mask:0xf
	v_fma_f32 v13, v24, v13, v29
	v_mul_f32_e32 v15, v24, v15
	v_cndmask_b32_e64 v13, v13, v29, s[34:35]
	v_cndmask_b32_e64 v15, v15, v24, s[34:35]
	s_nop 0
	v_mov_b32_dpp v17, v13 row_shr:2 row_mask:0xf bank_mask:0xf
	v_mov_b32_dpp v18, v15 row_shr:2 row_mask:0xf bank_mask:0xf
	v_fma_f32 v17, v15, v17, v13
	v_mul_f32_e32 v18, v15, v18
	v_cndmask_b32_e64 v13, v13, v17, s[10:11]
	v_cndmask_b32_e64 v15, v15, v18, s[10:11]
	;; [unrolled: 7-line block ×4, first 2 shown]
	s_nop 0
	v_mov_b32_dpp v17, v13 row_bcast:15 row_mask:0xf bank_mask:0xf
	v_mov_b32_dpp v18, v15 row_bcast:15 row_mask:0xf bank_mask:0xf
	v_fma_f32 v17, v15, v17, v13
	v_mul_f32_e32 v18, v15, v18
	v_cndmask_b32_e64 v17, v17, v13, s[16:17]
	v_cndmask_b32_e64 v18, v18, v15, s[16:17]
	s_nop 0
	v_mov_b32_dpp v13, v17 row_bcast:31 row_mask:0xf bank_mask:0xf
	v_mov_b32_dpp v15, v18 row_bcast:31 row_mask:0xf bank_mask:0xf
	v_fma_f32 v20, v18, v13, v17
	v_mul_f32_e32 v25, v18, v15
	v_cndmask_b32_e64 v13, v17, v20, s[18:19]
	v_cndmask_b32_e64 v15, v18, v25, s[18:19]
	s_and_saveexec_b64 s[56:57], s[20:21]
	s_cbranch_execz .LBB5_11
; %bb.10:                               ;   in Loop: Header=BB5_4 Depth=1
	v_cndmask_b32_e64 v17, v17, v20, s[18:19]
	v_cndmask_b32_e64 v18, v18, v25, s[18:19]
	ds_write2_b32 v38, v18, v17 offset1:1
.LBB5_11:                               ;   in Loop: Header=BB5_4 Depth=1
	s_or_b64 exec, exec, s[56:57]
	s_waitcnt lgkmcnt(0)
	s_barrier
	s_and_saveexec_b64 s[56:57], s[22:23]
	s_cbranch_execz .LBB5_13
; %bb.12:                               ;   in Loop: Header=BB5_4 Depth=1
	ds_read2_b32 v[30:31], v39 offset1:1
	s_waitcnt lgkmcnt(0)
	s_nop 0
	v_mov_b32_dpp v17, v30 row_shr:1 row_mask:0xf bank_mask:0xf
	v_mov_b32_dpp v18, v31 row_shr:1 row_mask:0xf bank_mask:0xf
	v_fma_f32 v18, v30, v18, v31
	v_mul_f32_e32 v17, v30, v17
	v_cndmask_b32_e64 v17, v17, v30, s[26:27]
	v_cndmask_b32_e64 v18, v18, v31, s[26:27]
	ds_write2_b32 v39, v17, v18 offset1:1
.LBB5_13:                               ;   in Loop: Header=BB5_4 Depth=1
	s_or_b64 exec, exec, s[56:57]
	s_waitcnt lgkmcnt(0)
	s_barrier
	s_waitcnt lgkmcnt(0)
                                        ; implicit-def: $vgpr30
	s_and_saveexec_b64 s[56:57], s[24:25]
	s_cbranch_execz .LBB5_15
; %bb.14:                               ;   in Loop: Header=BB5_4 Depth=1
	ds_read2_b32 v[30:31], v40 offset1:1
	s_waitcnt lgkmcnt(0)
	v_mul_f32_e32 v17, v15, v30
	v_fmac_f32_e32 v13, v15, v31
	v_mov_b32_e32 v15, v17
.LBB5_15:                               ;   in Loop: Header=BB5_4 Depth=1
	s_or_b64 exec, exec, s[56:57]
	ds_bpermute_b32 v15, v37, v15
	ds_bpermute_b32 v13, v37, v13
	s_and_saveexec_b64 s[56:57], s[4:5]
	s_xor_b64 s[56:57], exec, s[56:57]
	s_cbranch_execz .LBB5_17
; %bb.16:                               ;   in Loop: Header=BB5_4 Depth=1
	s_waitcnt lgkmcnt(1)
	v_cndmask_b32_e64 v1, v15, v30, s[28:29]
	v_mul_f32_e32 v24, v12, v1
	s_waitcnt lgkmcnt(0)
	v_cndmask_b32_e64 v1, v13, v31, s[28:29]
	v_fmac_f32_e32 v44, v12, v1
	v_fmac_f32_e32 v23, v44, v22
	v_mov_b32_e32 v25, v23
	v_mov_b32_e32 v12, v22
	v_mov_b32_e32 v13, v26
	v_pk_mul_f32 v[14:15], v[24:25], v[12:13]
	v_mul_f32_e32 v16, v14, v26
	v_add_f32_e32 v19, v15, v45
	v_mul_f32_e32 v20, v16, v27
	v_fmac_f32_e32 v21, v19, v27
	v_mov_b32_e32 v25, v44
	;;#ASMSTART
	;;#ASMEND
	v_mov_b32_e32 v1, v23
	v_pk_mov_b32 v[12:13], v[24:25], v[24:25] op_sel:[0,1]
	v_pk_mov_b32 v[24:25], v[20:21], v[20:21] op_sel:[0,1]
                                        ; implicit-def: $vgpr28_vgpr29
                                        ; implicit-def: $vgpr44
.LBB5_17:                               ;   in Loop: Header=BB5_4 Depth=1
	s_andn2_saveexec_b64 s[56:57], s[56:57]
	s_cbranch_execz .LBB5_19
; %bb.18:                               ;   in Loop: Header=BB5_4 Depth=1
	v_mov_b32_e32 v25, v29
	s_waitcnt lgkmcnt(0)
	v_mov_b32_e32 v13, v44
.LBB5_19:                               ;   in Loop: Header=BB5_4 Depth=1
	s_or_b64 exec, exec, s[56:57]
	s_waitcnt lgkmcnt(0)
	buffer_store_dword v13, off, s[0:3], 0 offset:4
	buffer_store_dword v12, off, s[0:3], 0
	buffer_store_dword v1, off, s[0:3], 0 offset:12
	buffer_store_dword v14, off, s[0:3], 0 offset:8
	;; [unrolled: 1-line block ×6, first 2 shown]
	s_barrier
	buffer_load_dword v18, off, s[0:3], 0
	buffer_load_dword v20, off, s[0:3], 0 offset:4
	buffer_load_dword v19, off, s[0:3], 0 offset:8
	;; [unrolled: 1-line block ×7, first 2 shown]
	ds_read2_b32 v[22:23], v9 offset1:1
	ds_read2_b32 v[16:17], v43 offset1:1
	s_and_saveexec_b64 s[56:57], s[30:31]
	s_cbranch_execz .LBB5_3
; %bb.20:                               ;   in Loop: Header=BB5_4 Depth=1
	buffer_load_dword v1, v41, s[0:3], 0 offen
	buffer_load_dword v9, v41, s[0:3], 0 offen offset:4
	s_add_i32 s62, s9, s8
	s_ashr_i32 s63, s62, 31
	s_lshl_b64 s[62:63], s[62:63], 2
	s_add_u32 s64, s40, s62
	s_addc_u32 s65, s41, s63
	v_mov_b32_e32 v24, s72
	s_add_u32 s62, s42, s62
	s_addc_u32 s63, s43, s63
	s_waitcnt vmcnt(1)
	v_mul_f32_e32 v10, v10, v1
	s_waitcnt vmcnt(0)
	v_fmac_f32_e32 v9, v11, v1
	global_store_dword v32, v10, s[64:65]
	global_store_dword v32, v9, s[62:63]
	ds_write2_b32 v24, v10, v9 offset1:8
	s_branch .LBB5_3
.LBB5_21:                               ;   in Loop: Header=BB5_4 Depth=1
                                        ; implicit-def: $sgpr62_sgpr63
                                        ; implicit-def: $vgpr1
	s_branch .LBB5_7
.LBB5_22:
	s_add_u32 s4, s38, s60
	s_addc_u32 s5, s39, s61
	s_add_u32 s4, s4, s44
	s_addc_u32 s5, s5, s45
	v_mov_b32_e32 v1, s5
	v_add_co_u32_e32 v6, vcc, s4, v6
	s_add_i32 s33, s33, -1
	v_addc_co_u32_e32 v7, vcc, v1, v7, vcc
	s_cmp_eq_u32 s9, s33
	s_cselect_b64 s[4:5], -1, 0
	v_cmp_gt_u32_e32 vcc, 8, v0
	s_and_b64 s[4:5], vcc, s[4:5]
	global_store_dwordx4 v[6:7], v[2:5], off
	s_and_saveexec_b64 s[6:7], s[4:5]
	s_cbranch_execz .LBB5_24
; %bb.23:
	v_lshl_add_u32 v1, v0, 2, 0
	ds_read_b32 v2, v1 offset:36912
	v_add_u32_e32 v0, s58, v0
	v_ashrrev_i32_e32 v1, 31, v0
	v_lshlrev_b64 v[0:1], 2, v[0:1]
	v_mov_b32_e32 v3, s37
	v_add_co_u32_e32 v0, vcc, s36, v0
	v_addc_co_u32_e32 v1, vcc, v3, v1, vcc
	s_waitcnt lgkmcnt(0)
	global_store_dword v[0:1], v2, off
.LBB5_24:
	s_endpgm
	.section	.rodata,"a",@progbits
	.p2align	6, 0x0
	.amdhsa_kernel _Z26selective_scan_vllm_kernelI18SSMFwdKernelTraitsILi128ELi4ELi8ELb0ELb1ELb1EEEv13SSMParamsBase
		.amdhsa_group_segment_fixed_size 0
		.amdhsa_private_segment_fixed_size 48
		.amdhsa_kernarg_size 144
		.amdhsa_user_sgpr_count 8
		.amdhsa_user_sgpr_private_segment_buffer 1
		.amdhsa_user_sgpr_dispatch_ptr 0
		.amdhsa_user_sgpr_queue_ptr 0
		.amdhsa_user_sgpr_kernarg_segment_ptr 1
		.amdhsa_user_sgpr_dispatch_id 0
		.amdhsa_user_sgpr_flat_scratch_init 1
		.amdhsa_user_sgpr_kernarg_preload_length 0
		.amdhsa_user_sgpr_kernarg_preload_offset 0
		.amdhsa_user_sgpr_private_segment_size 0
		.amdhsa_uses_dynamic_stack 0
		.amdhsa_system_sgpr_private_segment_wavefront_offset 1
		.amdhsa_system_sgpr_workgroup_id_x 1
		.amdhsa_system_sgpr_workgroup_id_y 1
		.amdhsa_system_sgpr_workgroup_id_z 0
		.amdhsa_system_sgpr_workgroup_info 0
		.amdhsa_system_vgpr_workitem_id 0
		.amdhsa_next_free_vgpr 46
		.amdhsa_next_free_sgpr 73
		.amdhsa_accum_offset 48
		.amdhsa_reserve_vcc 1
		.amdhsa_reserve_flat_scratch 0
		.amdhsa_float_round_mode_32 0
		.amdhsa_float_round_mode_16_64 0
		.amdhsa_float_denorm_mode_32 3
		.amdhsa_float_denorm_mode_16_64 3
		.amdhsa_dx10_clamp 1
		.amdhsa_ieee_mode 1
		.amdhsa_fp16_overflow 0
		.amdhsa_tg_split 0
		.amdhsa_exception_fp_ieee_invalid_op 0
		.amdhsa_exception_fp_denorm_src 0
		.amdhsa_exception_fp_ieee_div_zero 0
		.amdhsa_exception_fp_ieee_overflow 0
		.amdhsa_exception_fp_ieee_underflow 0
		.amdhsa_exception_fp_ieee_inexact 0
		.amdhsa_exception_int_div_zero 0
	.end_amdhsa_kernel
	.section	.text._Z26selective_scan_vllm_kernelI18SSMFwdKernelTraitsILi128ELi4ELi8ELb0ELb1ELb1EEEv13SSMParamsBase,"axG",@progbits,_Z26selective_scan_vllm_kernelI18SSMFwdKernelTraitsILi128ELi4ELi8ELb0ELb1ELb1EEEv13SSMParamsBase,comdat
.Lfunc_end5:
	.size	_Z26selective_scan_vllm_kernelI18SSMFwdKernelTraitsILi128ELi4ELi8ELb0ELb1ELb1EEEv13SSMParamsBase, .Lfunc_end5-_Z26selective_scan_vllm_kernelI18SSMFwdKernelTraitsILi128ELi4ELi8ELb0ELb1ELb1EEEv13SSMParamsBase
                                        ; -- End function
	.section	.AMDGPU.csdata,"",@progbits
; Kernel info:
; codeLenInByte = 2868
; NumSgprs: 77
; NumVgprs: 46
; NumAgprs: 0
; TotalNumVgprs: 46
; ScratchSize: 48
; MemoryBound: 0
; FloatMode: 240
; IeeeMode: 1
; LDSByteSize: 0 bytes/workgroup (compile time only)
; SGPRBlocks: 9
; VGPRBlocks: 5
; NumSGPRsForWavesPerEU: 77
; NumVGPRsForWavesPerEU: 46
; AccumOffset: 48
; Occupancy: 8
; WaveLimiterHint : 0
; COMPUTE_PGM_RSRC2:SCRATCH_EN: 1
; COMPUTE_PGM_RSRC2:USER_SGPR: 8
; COMPUTE_PGM_RSRC2:TRAP_HANDLER: 0
; COMPUTE_PGM_RSRC2:TGID_X_EN: 1
; COMPUTE_PGM_RSRC2:TGID_Y_EN: 1
; COMPUTE_PGM_RSRC2:TGID_Z_EN: 0
; COMPUTE_PGM_RSRC2:TIDIG_COMP_CNT: 0
; COMPUTE_PGM_RSRC3_GFX90A:ACCUM_OFFSET: 11
; COMPUTE_PGM_RSRC3_GFX90A:TG_SPLIT: 0
	.section	.text._Z26selective_scan_vllm_kernelI18SSMFwdKernelTraitsILi128ELi4ELi8ELb0ELb1ELb0EEEv13SSMParamsBase,"axG",@progbits,_Z26selective_scan_vllm_kernelI18SSMFwdKernelTraitsILi128ELi4ELi8ELb0ELb1ELb0EEEv13SSMParamsBase,comdat
	.protected	_Z26selective_scan_vllm_kernelI18SSMFwdKernelTraitsILi128ELi4ELi8ELb0ELb1ELb0EEEv13SSMParamsBase ; -- Begin function _Z26selective_scan_vllm_kernelI18SSMFwdKernelTraitsILi128ELi4ELi8ELb0ELb1ELb0EEEv13SSMParamsBase
	.globl	_Z26selective_scan_vllm_kernelI18SSMFwdKernelTraitsILi128ELi4ELi8ELb0ELb1ELb0EEEv13SSMParamsBase
	.p2align	8
	.type	_Z26selective_scan_vllm_kernelI18SSMFwdKernelTraitsILi128ELi4ELi8ELb0ELb1ELb0EEEv13SSMParamsBase,@function
_Z26selective_scan_vllm_kernelI18SSMFwdKernelTraitsILi128ELi4ELi8ELb0ELb1ELb0EEEv13SSMParamsBase: ; @_Z26selective_scan_vllm_kernelI18SSMFwdKernelTraitsILi128ELi4ELi8ELb0ELb1ELb0EEEv13SSMParamsBase
; %bb.0:
	s_load_dwordx2 s[16:17], s[4:5], 0x4
	s_add_u32 s0, s0, s10
	s_addc_u32 s1, s1, 0
	s_load_dwordx8 s[44:51], s[4:5], 0x18
	s_load_dwordx4 s[60:63], s[4:5], 0x38
	s_load_dwordx2 s[10:11], s[4:5], 0x48
	s_load_dwordx2 s[36:37], s[4:5], 0x88
	s_load_dwordx4 s[64:67], s[4:5], 0x78
	s_waitcnt lgkmcnt(0)
	s_abs_i32 s15, s16
	v_cvt_f32_u32_e32 v1, s15
	s_sub_i32 s6, 0, s15
	s_abs_i32 s18, s8
	s_ashr_i32 s19, s8, 31
	v_rcp_iflag_f32_e32 v1, v1
	s_lshl_b32 s14, s9, 9
	s_ashr_i32 s20, s16, 31
	v_cmp_ne_u32_e64 s[42:43], 0, v0
	v_mul_f32_e32 v1, 0x4f7ffffe, v1
	v_cvt_u32_f32_e32 v1, v1
	v_readfirstlane_b32 s7, v1
	s_mul_i32 s6, s6, s7
	s_mul_hi_u32 s6, s7, s6
	s_add_i32 s7, s7, s6
	s_mul_hi_u32 s21, s18, s7
	v_cmp_eq_u32_e64 s[6:7], 0, v0
	s_and_saveexec_b64 s[12:13], s[6:7]
	s_cbranch_execz .LBB6_2
; %bb.1:
	s_add_i32 s22, s14, 0x200
	s_min_i32 s22, s22, s17
	s_not_b32 s23, s14
	s_add_i32 s22, s22, s23
	s_ashr_i32 s23, s22, 31
	s_lshr_b32 s23, s23, 30
	s_add_i32 s23, s22, s23
	s_ashr_i32 s24, s23, 2
	s_and_b32 s23, s23, -4
	s_sub_i32 s22, s22, s23
	v_mov_b32_e32 v2, s24
	v_mov_b32_e32 v3, s22
	;; [unrolled: 1-line block ×3, first 2 shown]
	ds_write_b64 v1, v[2:3] offset:36944
.LBB6_2:
	s_or_b64 exec, exec, s[12:13]
	s_mul_i32 s13, s21, s15
	s_sub_i32 s13, s18, s13
	s_xor_b32 s12, s19, s20
	s_add_i32 s18, s21, 1
	s_sub_i32 s19, s13, s15
	s_cmp_ge_u32 s13, s15
	s_cselect_b32 s18, s18, s21
	s_cselect_b32 s13, s19, s13
	s_add_i32 s19, s18, 1
	s_cmp_ge_u32 s13, s15
	s_cselect_b32 s13, s19, s18
	s_xor_b32 s13, s13, s12
	s_sub_i32 s40, s13, s12
	s_mul_i32 s12, s40, s16
	s_sub_i32 s38, s8, s12
	s_mul_i32 s12, s40, s64
	s_ashr_i32 s13, s12, 31
	s_lshl_b64 s[68:69], s[12:13], 2
	s_add_u32 s15, s44, s68
	s_mul_i32 s12, s38, s65
	s_addc_u32 s18, s45, s69
	s_ashr_i32 s13, s12, 31
	s_lshl_b64 s[64:65], s[12:13], 2
	v_mov_b32_e32 v5, 0
	s_add_u32 s16, s15, s64
	s_waitcnt lgkmcnt(0)
	s_barrier
	ds_read_b64 v[8:9], v5 offset:36944
	s_addc_u32 s25, s18, s65
	s_ashr_i32 s39, s38, 31
	v_lshlrev_b32_e32 v1, 2, v0
	s_lshl_b64 s[18:19], s[38:39], 2
	v_add_u32_e32 v2, s14, v1
	s_add_u32 s10, s10, s18
	s_addc_u32 s11, s11, s19
	v_cmp_gt_i32_e64 s[44:45], s17, v2
	v_ashrrev_i32_e32 v3, 31, v2
	v_mov_b32_e32 v4, 0
	s_and_saveexec_b64 s[12:13], s[44:45]
	s_cbranch_execz .LBB6_4
; %bb.3:
	v_lshlrev_b64 v[6:7], 2, v[2:3]
	v_mov_b32_e32 v4, s25
	v_add_co_u32_e32 v6, vcc, s16, v6
	v_addc_co_u32_e32 v7, vcc, v4, v7, vcc
	global_load_dword v4, v[6:7], off
.LBB6_4:
	s_or_b64 exec, exec, s[12:13]
	s_load_dword s22, s[10:11], 0x0
	s_add_u32 s10, s46, s68
	s_addc_u32 s11, s47, s69
	s_add_u32 s23, s10, s64
	s_addc_u32 s24, s11, s65
	s_and_saveexec_b64 s[10:11], s[44:45]
	s_cbranch_execz .LBB6_6
; %bb.5:
	v_lshlrev_b64 v[6:7], 2, v[2:3]
	v_mov_b32_e32 v5, s24
	v_add_co_u32_e32 v6, vcc, s23, v6
	v_addc_co_u32_e32 v7, vcc, v5, v7, vcc
	global_load_dword v5, v[6:7], off
.LBB6_6:
	s_or_b64 exec, exec, s[10:11]
	s_waitcnt vmcnt(0) lgkmcnt(0)
	v_add_f32_e32 v6, s22, v5
	v_mul_f32_e32 v5, 0x3fb8aa3b, v6
	v_exp_f32_e32 v5, v5
	s_mov_b32 s10, 0x800000
	v_mov_b32_e32 v7, 0x4f800000
	s_mov_b32 s11, 0x7f800000
	v_add_f32_e32 v5, 1.0, v5
	v_cmp_gt_f32_e32 vcc, s10, v5
	v_cndmask_b32_e32 v7, 1.0, v7, vcc
	v_mul_f32_e32 v5, v5, v7
	v_log_f32_e32 v5, v5
	s_mov_b32 s10, 0x3f317217
	v_mov_b32_e32 v10, 0x41b17218
	s_mov_b32 s12, 0x41a00000
	v_mul_f32_e32 v7, 0x3f317217, v5
	v_fma_f32 v7, v5, s10, -v7
	v_fmac_f32_e32 v7, 0x3377d1cf, v5
	v_fmac_f32_e32 v7, 0x3f317217, v5
	v_cmp_lt_f32_e64 s[10:11], |v5|, s11
	v_cndmask_b32_e64 v7, v5, v7, s[10:11]
	v_cndmask_b32_e32 v10, 0, v10, vcc
	v_sub_f32_e32 v7, v7, v10
	v_cmp_lt_f32_e32 vcc, s12, v6
	v_lshl_add_u32 v30, v1, 2, 0
	v_cndmask_b32_e32 v6, v7, v6, vcc
	v_add_u32_e32 v7, 16, v30
	ds_write2st64_b32 v7, v4, v6 offset1:8
	v_or_b32_e32 v4, 1, v2
	v_mov_b32_e32 v5, 0
	v_cmp_gt_i32_e64 s[10:11], s17, v4
	v_mov_b32_e32 v4, 0
	s_and_saveexec_b64 s[12:13], s[10:11]
	s_cbranch_execz .LBB6_8
; %bb.7:
	v_lshlrev_b64 v[6:7], 2, v[2:3]
	v_mov_b32_e32 v4, s25
	v_add_co_u32_e32 v6, vcc, s16, v6
	v_addc_co_u32_e32 v7, vcc, v4, v7, vcc
	global_load_dword v4, v[6:7], off offset:4
.LBB6_8:
	s_or_b64 exec, exec, s[12:13]
	s_and_saveexec_b64 s[12:13], s[10:11]
	s_cbranch_execz .LBB6_10
; %bb.9:
	v_lshlrev_b64 v[6:7], 2, v[2:3]
	v_mov_b32_e32 v5, s24
	v_add_co_u32_e32 v6, vcc, s23, v6
	v_addc_co_u32_e32 v7, vcc, v5, v7, vcc
	global_load_dword v5, v[6:7], off offset:4
.LBB6_10:
	s_or_b64 exec, exec, s[12:13]
	s_waitcnt vmcnt(0)
	v_add_f32_e32 v6, s22, v5
	v_mul_f32_e32 v5, 0x3fb8aa3b, v6
	v_exp_f32_e32 v5, v5
	s_mov_b32 s12, 0x800000
	v_mov_b32_e32 v7, 0x4f800000
	s_mov_b32 s13, 0x7f800000
	v_add_f32_e32 v5, 1.0, v5
	v_cmp_gt_f32_e32 vcc, s12, v5
	v_cndmask_b32_e32 v7, 1.0, v7, vcc
	v_mul_f32_e32 v5, v5, v7
	v_log_f32_e32 v5, v5
	s_mov_b32 s12, 0x3f317217
	v_mov_b32_e32 v10, 0x41b17218
	s_mov_b32 s14, 0x41a00000
	v_mul_f32_e32 v7, 0x3f317217, v5
	v_fma_f32 v7, v5, s12, -v7
	v_fmac_f32_e32 v7, 0x3377d1cf, v5
	v_fmac_f32_e32 v7, 0x3f317217, v5
	v_cmp_lt_f32_e64 s[12:13], |v5|, s13
	v_cndmask_b32_e64 v7, v5, v7, s[12:13]
	v_cndmask_b32_e32 v10, 0, v10, vcc
	v_lshlrev_b32_e32 v1, 2, v1
	s_add_i32 s12, 0, 0x810
	v_sub_f32_e32 v7, v7, v10
	v_cmp_lt_f32_e32 vcc, s14, v6
	v_add3_u32 v31, 0, 16, v1
	v_add_u32_e32 v32, s12, v1
	v_or_b32_e32 v1, 2, v2
	v_mov_b32_e32 v5, 0
	v_cndmask_b32_e32 v6, v7, v6, vcc
	ds_write_b32 v31, v4 offset:4
	v_cmp_gt_i32_e64 s[12:13], s17, v1
	v_mov_b32_e32 v4, 0
	ds_write_b32 v32, v6 offset:4
	s_and_saveexec_b64 s[14:15], s[12:13]
	s_cbranch_execz .LBB6_12
; %bb.11:
	v_lshlrev_b64 v[6:7], 2, v[2:3]
	v_mov_b32_e32 v1, s25
	v_add_co_u32_e32 v6, vcc, s16, v6
	v_addc_co_u32_e32 v7, vcc, v1, v7, vcc
	global_load_dword v4, v[6:7], off offset:8
.LBB6_12:
	s_or_b64 exec, exec, s[14:15]
	s_and_saveexec_b64 s[14:15], s[12:13]
	s_cbranch_execz .LBB6_14
; %bb.13:
	v_lshlrev_b64 v[6:7], 2, v[2:3]
	v_mov_b32_e32 v1, s24
	v_add_co_u32_e32 v6, vcc, s23, v6
	v_addc_co_u32_e32 v7, vcc, v1, v7, vcc
	global_load_dword v5, v[6:7], off offset:8
.LBB6_14:
	s_or_b64 exec, exec, s[14:15]
	s_waitcnt vmcnt(0)
	v_add_f32_e32 v5, s22, v5
	v_mul_f32_e32 v1, 0x3fb8aa3b, v5
	v_exp_f32_e32 v1, v1
	s_mov_b32 s14, 0x800000
	v_mov_b32_e32 v6, 0x4f800000
	s_mov_b32 s15, 0x7f800000
	v_add_f32_e32 v1, 1.0, v1
	v_cmp_gt_f32_e32 vcc, s14, v1
	v_cndmask_b32_e32 v6, 1.0, v6, vcc
	v_mul_f32_e32 v1, v1, v6
	v_log_f32_e32 v1, v1
	s_mov_b32 s14, 0x3f317217
	v_mov_b32_e32 v7, 0x41b17218
	s_mov_b32 s20, 0x41a00000
	v_mul_f32_e32 v6, 0x3f317217, v1
	v_fma_f32 v6, v1, s14, -v6
	v_fmac_f32_e32 v6, 0x3377d1cf, v1
	v_fmac_f32_e32 v6, 0x3f317217, v1
	v_cmp_lt_f32_e64 s[14:15], |v1|, s15
	v_cndmask_b32_e64 v6, v1, v6, s[14:15]
	v_cndmask_b32_e32 v7, 0, v7, vcc
	v_sub_f32_e32 v6, v6, v7
	v_cmp_lt_f32_e32 vcc, s20, v5
	v_cndmask_b32_e32 v5, v6, v5, vcc
	ds_write_b32 v31, v4 offset:8
	ds_write_b32 v32, v5 offset:8
	v_or_b32_e32 v4, 3, v2
	v_mov_b32_e32 v1, 0
	v_cmp_le_i32_e32 vcc, s17, v4
	v_cmp_gt_i32_e64 s[14:15], s17, v4
	s_and_saveexec_b64 s[20:21], s[14:15]
	s_cbranch_execz .LBB6_16
; %bb.15:
	v_lshlrev_b64 v[4:5], 2, v[2:3]
	v_mov_b32_e32 v1, s25
	v_add_co_u32_e64 v4, s[16:17], s16, v4
	v_addc_co_u32_e64 v5, s[16:17], v1, v5, s[16:17]
	global_load_dword v1, v[4:5], off offset:12
.LBB6_16:
	s_or_b64 exec, exec, s[20:21]
                                        ; implicit-def: $sgpr20
	s_and_saveexec_b64 s[16:17], vcc
	s_xor_b64 s[16:17], exec, s[16:17]
; %bb.17:
	s_mov_b32 s20, 0
; %bb.18:
	s_or_saveexec_b64 s[16:17], s[16:17]
	s_load_dword s33, s[4:5], 0x10
	s_load_dwordx8 s[52:59], s[4:5], 0x58
	v_mov_b32_e32 v4, s20
	s_xor_b64 exec, exec, s[16:17]
	s_cbranch_execz .LBB6_20
; %bb.19:
	v_lshlrev_b64 v[4:5], 2, v[2:3]
	v_mov_b32_e32 v6, s24
	v_add_co_u32_e32 v4, vcc, s23, v4
	v_addc_co_u32_e32 v5, vcc, v6, v5, vcc
	global_load_dword v4, v[4:5], off offset:12
.LBB6_20:
	s_or_b64 exec, exec, s[16:17]
	s_waitcnt vmcnt(0)
	v_add_f32_e32 v4, s22, v4
	v_mul_f32_e32 v5, 0x3fb8aa3b, v4
	v_exp_f32_e32 v5, v5
	s_mov_b32 s4, 0x800000
	v_mov_b32_e32 v6, 0x4f800000
	s_mov_b32 s5, 0x7f800000
	v_add_f32_e32 v5, 1.0, v5
	v_cmp_gt_f32_e32 vcc, s4, v5
	v_cndmask_b32_e32 v6, 1.0, v6, vcc
	v_mul_f32_e32 v5, v5, v6
	v_log_f32_e32 v5, v5
	s_mov_b32 s4, 0x3f317217
	s_mov_b32 s16, 0x41a00000
	s_mul_i32 s75, s40, s66
	v_mul_f32_e32 v6, 0x3f317217, v5
	v_fma_f32 v6, v5, s4, -v6
	v_fmac_f32_e32 v6, 0x3377d1cf, v5
	v_fmac_f32_e32 v6, 0x3f317217, v5
	v_cmp_lt_f32_e64 s[4:5], |v5|, s5
	v_cndmask_b32_e64 v5, v5, v6, s[4:5]
	v_mov_b32_e32 v6, 0x41b17218
	v_cndmask_b32_e32 v6, 0, v6, vcc
	v_sub_f32_e32 v5, v5, v6
	v_cmp_lt_f32_e32 vcc, s16, v4
	s_add_u32 s4, s62, s18
	v_cndmask_b32_e32 v4, v5, v4, vcc
	s_addc_u32 s5, s63, s19
	ds_write_b32 v31, v1 offset:12
	ds_write_b32 v32, v4 offset:12
	s_waitcnt lgkmcnt(0)
	s_barrier
	s_load_dword s4, s[4:5], 0x0
	ds_read2_b32 v[4:5], v31 offset0:2 offset1:3
	ds_read2_b32 v[6:7], v30 offset0:4 offset1:5
	s_lshl_b32 s46, s38, 3
	s_cmp_lg_u32 s9, 0
	s_mul_i32 s40, s40, s36
	s_mul_i32 s66, s38, s37
	s_waitcnt lgkmcnt(0)
	v_pk_mul_f32 v[4:5], s[4:5], v[4:5] op_sel_hi:[0,1]
	v_pk_mul_f32 v[6:7], s[4:5], v[6:7] op_sel_hi:[0,1]
	s_cselect_b64 s[4:5], -1, 0
	s_add_i32 s66, s66, s40
	s_ashr_i32 s76, s9, 31
	s_add_u32 s77, s56, -4
	s_addc_u32 s78, s57, -1
	s_add_u32 s79, s58, -4
	s_addc_u32 s80, s59, -1
	s_add_u32 s81, s50, 4
	s_addc_u32 s82, s51, 0
	v_mbcnt_lo_u32_b32 v1, -1, 0
	s_add_u32 s83, s60, 4
	v_mbcnt_hi_u32_b32 v1, -1, v1
	s_addc_u32 s84, s61, 0
	v_and_b32_e32 v10, 15, v1
	s_add_u32 s85, s50, 8
	v_cmp_eq_u32_e64 s[16:17], 0, v10
	v_cmp_lt_u32_e64 s[18:19], 1, v10
	v_cmp_lt_u32_e64 s[20:21], 3, v10
	;; [unrolled: 1-line block ×3, first 2 shown]
	v_and_b32_e32 v10, 16, v1
	s_addc_u32 s86, s51, 0
	v_cmp_eq_u32_e64 s[24:25], 0, v10
	v_or_b32_e32 v10, 63, v0
	s_add_u32 s87, s60, 8
	v_cmp_eq_u32_e64 s[28:29], v10, v0
	v_add_u32_e32 v10, -1, v1
	v_and_b32_e32 v11, 64, v1
	s_addc_u32 s88, s61, 0
	v_cmp_lt_i32_e32 vcc, v10, v11
	s_add_u32 s89, s50, 12
	v_cndmask_b32_e32 v10, v10, v1, vcc
	s_addc_u32 s90, s51, 0
	v_lshlrev_b32_e32 v33, 2, v10
	v_lshrrev_b32_e32 v10, 3, v0
	s_add_u32 s91, s60, 12
	v_and_b32_e32 v10, 8, v10
	s_addc_u32 s92, s61, 0
	s_mul_i32 s8, s8, s33
	s_ashr_i32 s47, s46, 31
	v_cmp_lt_u32_e64 s[26:27], 31, v1
	v_add_u32_e32 v34, 0, v10
	v_and_b32_e32 v10, 1, v1
	v_cmp_eq_u32_e64 s[38:39], 0, v1
	s_lshl_b32 s8, s8, 3
	s_lshl_b64 s[40:41], s[46:47], 2
	v_lshlrev_b32_e32 v1, 3, v9
	s_add_u32 s46, s48, s40
	v_add_u32_e32 v37, 0, v1
	v_lshl_add_u32 v1, v0, 4, 0
	s_mov_b32 s74, 0
	v_cmp_gt_u32_e64 s[30:31], 2, v0
	v_cmp_lt_u32_e64 s[34:35], 63, v0
	v_lshl_add_u32 v35, v0, 3, 0
	v_cmp_eq_u32_e64 s[36:37], 0, v10
	v_add_u32_e32 v36, -8, v34
	s_addc_u32 s47, s49, s41
	v_cmp_eq_u32_e64 s[40:41], v0, v8
	v_add_u32_e32 v38, 0x1010, v1
	v_mov_b32_e32 v39, 0
	s_mov_b32 s48, s66
	s_branch .LBB6_22
.LBB6_21:                               ;   in Loop: Header=BB6_22 Depth=1
	s_or_b64 exec, exec, s[62:63]
	s_add_i32 s74, s74, 4
	s_add_i32 s75, s75, s67
	;; [unrolled: 1-line block ×4, first 2 shown]
	v_mov_b32_e32 v8, v9
	s_add_u32 s46, s46, 4
	s_waitcnt vmcnt(4)
	v_pk_fma_f32 v[14:15], v[8:9], v[14:15], v[18:19] op_sel_hi:[0,1,1]
	s_waitcnt vmcnt(0)
	v_pk_fma_f32 v[8:9], v[8:9], v[10:11], v[12:13] op_sel_hi:[0,1,1]
	s_addc_u32 s47, s47, 0
	s_waitcnt lgkmcnt(1)
	v_pk_fma_f32 v[6:7], v[20:21], v[14:15], v[6:7]
	s_waitcnt lgkmcnt(0)
	v_pk_fma_f32 v[4:5], v[16:17], v[8:9], v[4:5]
	s_cmp_eq_u32 s74, 32
	v_add_u32_e32 v38, 0x800, v38
	s_barrier
	s_cbranch_scc1 .LBB6_56
.LBB6_22:                               ; =>This Inner Loop Header: Depth=1
	s_and_saveexec_b64 s[62:63], s[6:7]
	s_cbranch_execz .LBB6_27
; %bb.23:                               ;   in Loop: Header=BB6_22 Depth=1
	s_and_b64 vcc, exec, s[4:5]
	s_cbranch_vccz .LBB6_55
; %bb.24:                               ;   in Loop: Header=BB6_22 Depth=1
	s_ashr_i32 s49, s8, 31
	s_add_u32 s70, s9, s8
	s_addc_u32 s71, s76, s49
	s_lshl_b64 s[70:71], s[70:71], 2
	s_add_u32 s72, s77, s70
	s_addc_u32 s73, s78, s71
	global_load_dword v1, v39, s[72:73]
	s_add_u32 s70, s79, s70
	s_addc_u32 s71, s80, s71
	s_cbranch_execnz .LBB6_26
.LBB6_25:                               ;   in Loop: Header=BB6_22 Depth=1
	s_ashr_i32 s49, s48, 31
	s_lshl_b64 s[70:71], s[48:49], 2
	s_add_u32 s70, s52, s70
	s_addc_u32 s71, s53, s71
	s_waitcnt vmcnt(0)
	v_mov_b32_e32 v1, 1.0
.LBB6_26:                               ;   in Loop: Header=BB6_22 Depth=1
	global_load_dword v8, v39, s[70:71]
	s_add_i32 s49, s74, 0
	v_mov_b32_e32 v9, s49
	v_add_u32_e32 v9, 0x9000, v9
	s_waitcnt vmcnt(0)
	ds_write2_b32 v9, v1, v8 offset0:4 offset1:12
.LBB6_27:                               ;   in Loop: Header=BB6_22 Depth=1
	s_or_b64 exec, exec, s[62:63]
	v_add_u32_e32 v8, s75, v2
	v_mov_b32_e32 v1, 0
	v_ashrrev_i32_e32 v9, 31, v8
	v_mov_b32_e32 v10, 0
	s_and_saveexec_b64 s[62:63], s[44:45]
	s_cbranch_execz .LBB6_29
; %bb.28:                               ;   in Loop: Header=BB6_22 Depth=1
	v_lshlrev_b64 v[10:11], 2, v[8:9]
	v_mov_b32_e32 v12, s51
	v_add_co_u32_e32 v10, vcc, s50, v10
	v_addc_co_u32_e32 v11, vcc, v12, v11, vcc
	global_load_dword v10, v[10:11], off
.LBB6_29:                               ;   in Loop: Header=BB6_22 Depth=1
	s_or_b64 exec, exec, s[62:63]
	s_waitcnt vmcnt(0)
	ds_write_b32 v38, v10
	s_and_saveexec_b64 s[62:63], s[44:45]
	s_cbranch_execz .LBB6_31
; %bb.30:                               ;   in Loop: Header=BB6_22 Depth=1
	v_lshlrev_b64 v[8:9], 2, v[8:9]
	v_mov_b32_e32 v1, s61
	v_add_co_u32_e32 v8, vcc, s60, v8
	v_addc_co_u32_e32 v9, vcc, v1, v9, vcc
	global_load_dword v1, v[8:9], off
.LBB6_31:                               ;   in Loop: Header=BB6_22 Depth=1
	s_or_b64 exec, exec, s[62:63]
	s_waitcnt vmcnt(0)
	ds_write_b32 v38, v1 offset:16384
	v_mov_b32_e32 v1, 0
	v_mov_b32_e32 v8, 0
	s_and_saveexec_b64 s[62:63], s[10:11]
	s_cbranch_execz .LBB6_33
; %bb.32:                               ;   in Loop: Header=BB6_22 Depth=1
	s_ashr_i32 s49, s75, 31
	v_mov_b32_e32 v9, s49
	v_add_co_u32_e32 v8, vcc, s75, v2
	v_addc_co_u32_e32 v9, vcc, v9, v3, vcc
	v_lshlrev_b64 v[8:9], 2, v[8:9]
	v_mov_b32_e32 v10, s82
	v_add_co_u32_e32 v8, vcc, s81, v8
	v_addc_co_u32_e32 v9, vcc, v10, v9, vcc
	global_load_dword v8, v[8:9], off
.LBB6_33:                               ;   in Loop: Header=BB6_22 Depth=1
	s_or_b64 exec, exec, s[62:63]
	s_waitcnt vmcnt(0)
	ds_write_b32 v38, v8 offset:4
	s_and_saveexec_b64 s[62:63], s[10:11]
	s_cbranch_execz .LBB6_35
; %bb.34:                               ;   in Loop: Header=BB6_22 Depth=1
	s_ashr_i32 s49, s75, 31
	v_mov_b32_e32 v1, s49
	v_add_co_u32_e32 v8, vcc, s75, v2
	v_addc_co_u32_e32 v9, vcc, v1, v3, vcc
	v_lshlrev_b64 v[8:9], 2, v[8:9]
	v_mov_b32_e32 v1, s84
	v_add_co_u32_e32 v8, vcc, s83, v8
	v_addc_co_u32_e32 v9, vcc, v1, v9, vcc
	global_load_dword v1, v[8:9], off
.LBB6_35:                               ;   in Loop: Header=BB6_22 Depth=1
	s_or_b64 exec, exec, s[62:63]
	s_waitcnt vmcnt(0)
	ds_write_b32 v38, v1 offset:16388
	v_mov_b32_e32 v1, 0
	v_mov_b32_e32 v8, 0
	s_and_saveexec_b64 s[62:63], s[12:13]
	s_cbranch_execz .LBB6_37
; %bb.36:                               ;   in Loop: Header=BB6_22 Depth=1
	s_ashr_i32 s49, s75, 31
	v_mov_b32_e32 v9, s49
	v_add_co_u32_e32 v8, vcc, s75, v2
	v_addc_co_u32_e32 v9, vcc, v9, v3, vcc
	v_lshlrev_b64 v[8:9], 2, v[8:9]
	v_mov_b32_e32 v10, s86
	v_add_co_u32_e32 v8, vcc, s85, v8
	v_addc_co_u32_e32 v9, vcc, v10, v9, vcc
	global_load_dword v8, v[8:9], off
.LBB6_37:                               ;   in Loop: Header=BB6_22 Depth=1
	s_or_b64 exec, exec, s[62:63]
	s_waitcnt vmcnt(0)
	ds_write_b32 v38, v8 offset:8
	s_and_saveexec_b64 s[62:63], s[12:13]
	s_cbranch_execz .LBB6_39
; %bb.38:                               ;   in Loop: Header=BB6_22 Depth=1
	s_ashr_i32 s49, s75, 31
	v_mov_b32_e32 v1, s49
	v_add_co_u32_e32 v8, vcc, s75, v2
	v_addc_co_u32_e32 v9, vcc, v1, v3, vcc
	v_lshlrev_b64 v[8:9], 2, v[8:9]
	v_mov_b32_e32 v1, s88
	v_add_co_u32_e32 v8, vcc, s87, v8
	v_addc_co_u32_e32 v9, vcc, v1, v9, vcc
	global_load_dword v1, v[8:9], off
.LBB6_39:                               ;   in Loop: Header=BB6_22 Depth=1
	;; [unrolled: 34-line block ×3, first 2 shown]
	s_or_b64 exec, exec, s[62:63]
	s_waitcnt vmcnt(0)
	ds_write_b32 v38, v1 offset:16396
	s_waitcnt lgkmcnt(0)
	s_barrier
	global_load_dword v1, v39, s[46:47]
	v_add_u32_e32 v8, 0x810, v30
	ds_read2_b32 v[10:11], v30 offset0:4 offset1:5
	ds_read2_b32 v[12:13], v32 offset0:2 offset1:3
	;; [unrolled: 1-line block ×3, first 2 shown]
	ds_read2_b32 v[16:17], v38 offset1:1
	ds_read2_b32 v[18:19], v38 offset0:2 offset1:3
	ds_read2_b32 v[22:23], v8 offset1:1
	s_add_i32 s49, s74, 0
	v_mov_b32_e32 v9, s49
	v_add_u32_e32 v8, 0x9000, v9
	s_waitcnt lgkmcnt(1)
	v_mul_f32_e32 v18, v12, v18
	s_waitcnt lgkmcnt(0)
	v_mul_f32_e32 v17, v23, v17
	v_mul_f32_e32 v16, v22, v16
	;; [unrolled: 1-line block ×7, first 2 shown]
	ds_read2_b32 v[8:9], v8 offset0:4 offset1:12
	s_waitcnt vmcnt(0)
	v_mul_f32_e32 v11, v23, v1
	v_mul_f32_e32 v10, v22, v1
	v_mul_f32_e32 v11, 0x3fb8aa3b, v11
	v_mul_f32_e32 v12, v12, v1
	v_mul_f32_e32 v10, 0x3fb8aa3b, v10
	v_exp_f32_e32 v20, v11
	v_mul_f32_e32 v1, v13, v1
	v_mul_f32_e32 v12, 0x3fb8aa3b, v12
	v_exp_f32_e32 v10, v10
	v_mul_f32_e32 v1, 0x3fb8aa3b, v1
	v_exp_f32_e32 v24, v12
	v_exp_f32_e32 v25, v1
	v_mul_f32_e32 v11, v40, v20
	v_pk_mul_f32 v[12:13], v[10:11], v[20:21]
	v_pk_add_f32 v[14:15], v[10:11], v[20:21]
	v_fma_f32 v17, v15, v24, v41
	v_mov_b32_e32 v16, v12
	v_mov_b32_e32 v18, v25
	;; [unrolled: 1-line block ×3, first 2 shown]
	v_pk_mul_f32 v[14:15], v[16:17], v[24:25]
	v_pk_fma_f32 v[26:27], v[16:17], v[24:25], v[18:19]
	v_pk_mul_f32 v[22:23], v[14:15], v[18:19]
	s_nop 0
	v_mov_b32_dpp v11, v27 row_shr:1 row_mask:0xf bank_mask:0xf
	v_mov_b32_dpp v13, v22 row_shr:1 row_mask:0xf bank_mask:0xf
	v_fma_f32 v11, v22, v11, v27
	v_mul_f32_e32 v13, v22, v13
	v_cndmask_b32_e64 v11, v11, v27, s[16:17]
	v_cndmask_b32_e64 v13, v13, v22, s[16:17]
	s_nop 0
	v_mov_b32_dpp v15, v11 row_shr:2 row_mask:0xf bank_mask:0xf
	v_mov_b32_dpp v16, v13 row_shr:2 row_mask:0xf bank_mask:0xf
	v_fma_f32 v15, v13, v15, v11
	v_mul_f32_e32 v16, v13, v16
	v_cndmask_b32_e64 v11, v11, v15, s[18:19]
	v_cndmask_b32_e64 v13, v13, v16, s[18:19]
	;; [unrolled: 7-line block ×4, first 2 shown]
	s_nop 0
	v_mov_b32_dpp v15, v11 row_bcast:15 row_mask:0xf bank_mask:0xf
	v_mov_b32_dpp v16, v13 row_bcast:15 row_mask:0xf bank_mask:0xf
	v_fma_f32 v15, v13, v15, v11
	v_mul_f32_e32 v16, v13, v16
	v_cndmask_b32_e64 v15, v15, v11, s[24:25]
	v_cndmask_b32_e64 v16, v16, v13, s[24:25]
	s_nop 0
	v_mov_b32_dpp v11, v15 row_bcast:31 row_mask:0xf bank_mask:0xf
	v_mov_b32_dpp v13, v16 row_bcast:31 row_mask:0xf bank_mask:0xf
	v_fma_f32 v18, v16, v11, v15
	v_mul_f32_e32 v23, v16, v13
	v_cndmask_b32_e64 v11, v15, v18, s[26:27]
	v_cndmask_b32_e64 v13, v16, v23, s[26:27]
	s_and_saveexec_b64 s[62:63], s[28:29]
	s_cbranch_execz .LBB6_45
; %bb.44:                               ;   in Loop: Header=BB6_22 Depth=1
	v_cndmask_b32_e64 v15, v15, v18, s[26:27]
	v_cndmask_b32_e64 v16, v16, v23, s[26:27]
	ds_write2_b32 v34, v16, v15 offset1:1
.LBB6_45:                               ;   in Loop: Header=BB6_22 Depth=1
	s_or_b64 exec, exec, s[62:63]
	s_waitcnt lgkmcnt(0)
	s_barrier
	s_and_saveexec_b64 s[62:63], s[30:31]
	s_cbranch_execz .LBB6_47
; %bb.46:                               ;   in Loop: Header=BB6_22 Depth=1
	ds_read2_b32 v[28:29], v35 offset1:1
	s_waitcnt lgkmcnt(0)
	s_nop 0
	v_mov_b32_dpp v15, v28 row_shr:1 row_mask:0xf bank_mask:0xf
	v_mov_b32_dpp v16, v29 row_shr:1 row_mask:0xf bank_mask:0xf
	v_fma_f32 v16, v28, v16, v29
	v_mul_f32_e32 v15, v28, v15
	v_cndmask_b32_e64 v15, v15, v28, s[36:37]
	v_cndmask_b32_e64 v16, v16, v29, s[36:37]
	ds_write2_b32 v35, v15, v16 offset1:1
.LBB6_47:                               ;   in Loop: Header=BB6_22 Depth=1
	s_or_b64 exec, exec, s[62:63]
	s_waitcnt lgkmcnt(0)
	s_barrier
	s_waitcnt lgkmcnt(0)
                                        ; implicit-def: $vgpr28
	s_and_saveexec_b64 s[62:63], s[34:35]
	s_cbranch_execz .LBB6_49
; %bb.48:                               ;   in Loop: Header=BB6_22 Depth=1
	ds_read2_b32 v[28:29], v36 offset1:1
	s_waitcnt lgkmcnt(0)
	v_mul_f32_e32 v15, v13, v28
	v_fmac_f32_e32 v11, v13, v29
	v_mov_b32_e32 v13, v15
.LBB6_49:                               ;   in Loop: Header=BB6_22 Depth=1
	s_or_b64 exec, exec, s[62:63]
	ds_bpermute_b32 v13, v33, v13
	ds_bpermute_b32 v11, v33, v11
	s_and_saveexec_b64 s[62:63], s[42:43]
	s_xor_b64 s[62:63], exec, s[62:63]
	s_cbranch_execz .LBB6_51
; %bb.50:                               ;   in Loop: Header=BB6_22 Depth=1
	s_waitcnt lgkmcnt(1)
	v_cndmask_b32_e64 v1, v13, v28, s[38:39]
	v_mul_f32_e32 v22, v10, v1
	s_waitcnt lgkmcnt(0)
	v_cndmask_b32_e64 v1, v11, v29, s[38:39]
	v_fmac_f32_e32 v40, v10, v1
	v_fmac_f32_e32 v21, v40, v20
	v_mov_b32_e32 v23, v21
	v_mov_b32_e32 v10, v20
	;; [unrolled: 1-line block ×3, first 2 shown]
	v_pk_mul_f32 v[12:13], v[22:23], v[10:11]
	v_mul_f32_e32 v14, v12, v24
	v_add_f32_e32 v17, v13, v41
	v_mul_f32_e32 v18, v14, v25
	v_fmac_f32_e32 v19, v17, v25
	v_mov_b32_e32 v23, v40
	;;#ASMSTART
	;;#ASMEND
	v_mov_b32_e32 v1, v21
	v_pk_mov_b32 v[10:11], v[22:23], v[22:23] op_sel:[0,1]
	v_pk_mov_b32 v[22:23], v[18:19], v[18:19] op_sel:[0,1]
                                        ; implicit-def: $vgpr26_vgpr27
                                        ; implicit-def: $vgpr40
.LBB6_51:                               ;   in Loop: Header=BB6_22 Depth=1
	s_andn2_saveexec_b64 s[62:63], s[62:63]
	s_cbranch_execz .LBB6_53
; %bb.52:                               ;   in Loop: Header=BB6_22 Depth=1
	v_mov_b32_e32 v23, v27
	s_waitcnt lgkmcnt(0)
	v_mov_b32_e32 v11, v40
.LBB6_53:                               ;   in Loop: Header=BB6_22 Depth=1
	s_or_b64 exec, exec, s[62:63]
	s_waitcnt lgkmcnt(0)
	buffer_store_dword v11, off, s[0:3], 0 offset:4
	buffer_store_dword v10, off, s[0:3], 0
	buffer_store_dword v1, off, s[0:3], 0 offset:12
	buffer_store_dword v12, off, s[0:3], 0 offset:8
	;; [unrolled: 1-line block ×6, first 2 shown]
	s_barrier
	buffer_load_dword v14, off, s[0:3], 0
	buffer_load_dword v18, off, s[0:3], 0 offset:4
	buffer_load_dword v15, off, s[0:3], 0 offset:8
	;; [unrolled: 1-line block ×7, first 2 shown]
	v_add_u32_e32 v1, 0x4000, v38
	v_add_u32_e32 v16, 0x4008, v38
	ds_read2_b32 v[20:21], v1 offset1:1
	ds_read2_b32 v[16:17], v16 offset1:1
	s_and_saveexec_b64 s[62:63], s[40:41]
	s_cbranch_execz .LBB6_21
; %bb.54:                               ;   in Loop: Header=BB6_22 Depth=1
	buffer_load_dword v1, v37, s[0:3], 0 offen
	buffer_load_dword v22, v37, s[0:3], 0 offen offset:4
	s_add_i32 s70, s9, s8
	s_ashr_i32 s71, s70, 31
	s_lshl_b64 s[70:71], s[70:71], 2
	s_add_u32 s72, s56, s70
	v_mov_b32_e32 v23, s49
	s_addc_u32 s73, s57, s71
	v_add_u32_e32 v23, 0x9000, v23
	s_add_u32 s70, s58, s70
	s_addc_u32 s71, s59, s71
	s_waitcnt vmcnt(1)
	v_mul_f32_e32 v8, v8, v1
	s_waitcnt vmcnt(0)
	v_fmac_f32_e32 v22, v9, v1
	global_store_dword v39, v8, s[72:73]
	global_store_dword v39, v22, s[70:71]
	ds_write2_b32 v23, v8, v22 offset0:4 offset1:12
	s_branch .LBB6_21
.LBB6_55:                               ;   in Loop: Header=BB6_22 Depth=1
                                        ; implicit-def: $sgpr70_sgpr71
                                        ; implicit-def: $vgpr1
	s_branch .LBB6_25
.LBB6_56:
	s_add_u32 s4, s54, s68
	s_addc_u32 s5, s55, s69
	s_add_u32 s6, s4, s64
	s_addc_u32 s7, s5, s65
	v_lshlrev_b64 v[2:3], 2, v[2:3]
	s_and_saveexec_b64 s[4:5], s[44:45]
	s_cbranch_execnz .LBB6_64
; %bb.57:
	s_or_b64 exec, exec, s[4:5]
	s_and_saveexec_b64 s[4:5], s[10:11]
	s_cbranch_execnz .LBB6_65
.LBB6_58:
	s_or_b64 exec, exec, s[4:5]
	s_and_saveexec_b64 s[4:5], s[12:13]
	s_cbranch_execnz .LBB6_66
.LBB6_59:
	s_or_b64 exec, exec, s[4:5]
	s_and_saveexec_b64 s[4:5], s[14:15]
	s_cbranch_execz .LBB6_61
.LBB6_60:
	v_mov_b32_e32 v1, s7
	v_add_co_u32_e32 v2, vcc, s6, v2
	v_addc_co_u32_e32 v3, vcc, v1, v3, vcc
	global_store_dword v[2:3], v5, off offset:12
.LBB6_61:
	s_or_b64 exec, exec, s[4:5]
	s_add_i32 s33, s33, -1
	s_cmp_eq_u32 s9, s33
	s_cselect_b64 s[4:5], -1, 0
	v_cmp_gt_u32_e32 vcc, 8, v0
	s_and_b64 s[4:5], vcc, s[4:5]
	s_and_saveexec_b64 s[6:7], s[4:5]
	s_cbranch_execz .LBB6_63
; %bb.62:
	v_lshl_add_u32 v1, v0, 2, 0
	ds_read_b32 v2, v1 offset:36912
	v_add_u32_e32 v0, s66, v0
	v_ashrrev_i32_e32 v1, 31, v0
	v_lshlrev_b64 v[0:1], 2, v[0:1]
	v_mov_b32_e32 v3, s53
	v_add_co_u32_e32 v0, vcc, s52, v0
	v_addc_co_u32_e32 v1, vcc, v3, v1, vcc
	s_waitcnt lgkmcnt(0)
	global_store_dword v[0:1], v2, off
.LBB6_63:
	s_endpgm
.LBB6_64:
	v_mov_b32_e32 v1, s7
	v_add_co_u32_e32 v8, vcc, s6, v2
	v_addc_co_u32_e32 v9, vcc, v1, v3, vcc
	global_store_dword v[8:9], v6, off
	s_or_b64 exec, exec, s[4:5]
	s_and_saveexec_b64 s[4:5], s[10:11]
	s_cbranch_execz .LBB6_58
.LBB6_65:
	v_mov_b32_e32 v1, s7
	v_add_co_u32_e32 v8, vcc, s6, v2
	v_addc_co_u32_e32 v9, vcc, v1, v3, vcc
	global_store_dword v[8:9], v7, off offset:4
	s_or_b64 exec, exec, s[4:5]
	s_and_saveexec_b64 s[4:5], s[12:13]
	s_cbranch_execz .LBB6_59
.LBB6_66:
	v_mov_b32_e32 v1, s7
	v_add_co_u32_e32 v6, vcc, s6, v2
	v_addc_co_u32_e32 v7, vcc, v1, v3, vcc
	global_store_dword v[6:7], v4, off offset:8
	s_or_b64 exec, exec, s[4:5]
	s_and_saveexec_b64 s[4:5], s[14:15]
	s_cbranch_execnz .LBB6_60
	s_branch .LBB6_61
	.section	.rodata,"a",@progbits
	.p2align	6, 0x0
	.amdhsa_kernel _Z26selective_scan_vllm_kernelI18SSMFwdKernelTraitsILi128ELi4ELi8ELb0ELb1ELb0EEEv13SSMParamsBase
		.amdhsa_group_segment_fixed_size 0
		.amdhsa_private_segment_fixed_size 48
		.amdhsa_kernarg_size 144
		.amdhsa_user_sgpr_count 8
		.amdhsa_user_sgpr_private_segment_buffer 1
		.amdhsa_user_sgpr_dispatch_ptr 0
		.amdhsa_user_sgpr_queue_ptr 0
		.amdhsa_user_sgpr_kernarg_segment_ptr 1
		.amdhsa_user_sgpr_dispatch_id 0
		.amdhsa_user_sgpr_flat_scratch_init 1
		.amdhsa_user_sgpr_kernarg_preload_length 0
		.amdhsa_user_sgpr_kernarg_preload_offset 0
		.amdhsa_user_sgpr_private_segment_size 0
		.amdhsa_uses_dynamic_stack 0
		.amdhsa_system_sgpr_private_segment_wavefront_offset 1
		.amdhsa_system_sgpr_workgroup_id_x 1
		.amdhsa_system_sgpr_workgroup_id_y 1
		.amdhsa_system_sgpr_workgroup_id_z 0
		.amdhsa_system_sgpr_workgroup_info 0
		.amdhsa_system_vgpr_workitem_id 0
		.amdhsa_next_free_vgpr 42
		.amdhsa_next_free_sgpr 93
		.amdhsa_accum_offset 44
		.amdhsa_reserve_vcc 1
		.amdhsa_reserve_flat_scratch 0
		.amdhsa_float_round_mode_32 0
		.amdhsa_float_round_mode_16_64 0
		.amdhsa_float_denorm_mode_32 3
		.amdhsa_float_denorm_mode_16_64 3
		.amdhsa_dx10_clamp 1
		.amdhsa_ieee_mode 1
		.amdhsa_fp16_overflow 0
		.amdhsa_tg_split 0
		.amdhsa_exception_fp_ieee_invalid_op 0
		.amdhsa_exception_fp_denorm_src 0
		.amdhsa_exception_fp_ieee_div_zero 0
		.amdhsa_exception_fp_ieee_overflow 0
		.amdhsa_exception_fp_ieee_underflow 0
		.amdhsa_exception_fp_ieee_inexact 0
		.amdhsa_exception_int_div_zero 0
	.end_amdhsa_kernel
	.section	.text._Z26selective_scan_vllm_kernelI18SSMFwdKernelTraitsILi128ELi4ELi8ELb0ELb1ELb0EEEv13SSMParamsBase,"axG",@progbits,_Z26selective_scan_vllm_kernelI18SSMFwdKernelTraitsILi128ELi4ELi8ELb0ELb1ELb0EEEv13SSMParamsBase,comdat
.Lfunc_end6:
	.size	_Z26selective_scan_vllm_kernelI18SSMFwdKernelTraitsILi128ELi4ELi8ELb0ELb1ELb0EEEv13SSMParamsBase, .Lfunc_end6-_Z26selective_scan_vllm_kernelI18SSMFwdKernelTraitsILi128ELi4ELi8ELb0ELb1ELb0EEEv13SSMParamsBase
                                        ; -- End function
	.section	.AMDGPU.csdata,"",@progbits
; Kernel info:
; codeLenInByte = 4128
; NumSgprs: 97
; NumVgprs: 42
; NumAgprs: 0
; TotalNumVgprs: 42
; ScratchSize: 48
; MemoryBound: 0
; FloatMode: 240
; IeeeMode: 1
; LDSByteSize: 0 bytes/workgroup (compile time only)
; SGPRBlocks: 12
; VGPRBlocks: 5
; NumSGPRsForWavesPerEU: 97
; NumVGPRsForWavesPerEU: 42
; AccumOffset: 44
; Occupancy: 8
; WaveLimiterHint : 0
; COMPUTE_PGM_RSRC2:SCRATCH_EN: 1
; COMPUTE_PGM_RSRC2:USER_SGPR: 8
; COMPUTE_PGM_RSRC2:TRAP_HANDLER: 0
; COMPUTE_PGM_RSRC2:TGID_X_EN: 1
; COMPUTE_PGM_RSRC2:TGID_Y_EN: 1
; COMPUTE_PGM_RSRC2:TGID_Z_EN: 0
; COMPUTE_PGM_RSRC2:TIDIG_COMP_CNT: 0
; COMPUTE_PGM_RSRC3_GFX90A:ACCUM_OFFSET: 10
; COMPUTE_PGM_RSRC3_GFX90A:TG_SPLIT: 0
	.section	.text._Z26selective_scan_vllm_kernelI18SSMFwdKernelTraitsILi128ELi4ELi8ELb0ELb0ELb1EEEv13SSMParamsBase,"axG",@progbits,_Z26selective_scan_vllm_kernelI18SSMFwdKernelTraitsILi128ELi4ELi8ELb0ELb0ELb1EEEv13SSMParamsBase,comdat
	.protected	_Z26selective_scan_vllm_kernelI18SSMFwdKernelTraitsILi128ELi4ELi8ELb0ELb0ELb1EEEv13SSMParamsBase ; -- Begin function _Z26selective_scan_vllm_kernelI18SSMFwdKernelTraitsILi128ELi4ELi8ELb0ELb0ELb1EEEv13SSMParamsBase
	.globl	_Z26selective_scan_vllm_kernelI18SSMFwdKernelTraitsILi128ELi4ELi8ELb0ELb0ELb1EEEv13SSMParamsBase
	.p2align	8
	.type	_Z26selective_scan_vllm_kernelI18SSMFwdKernelTraitsILi128ELi4ELi8ELb0ELb0ELb1EEEv13SSMParamsBase,@function
_Z26selective_scan_vllm_kernelI18SSMFwdKernelTraitsILi128ELi4ELi8ELb0ELb0ELb1EEEv13SSMParamsBase: ; @_Z26selective_scan_vllm_kernelI18SSMFwdKernelTraitsILi128ELi4ELi8ELb0ELb0ELb1EEEv13SSMParamsBase
; %bb.0:
	s_load_dword s12, s[4:5], 0x4
	s_load_dword s33, s[4:5], 0x10
	s_load_dwordx8 s[44:51], s[4:5], 0x18
	s_add_u32 s0, s0, s10
	s_addc_u32 s1, s1, 0
	s_waitcnt lgkmcnt(0)
	s_abs_i32 s13, s12
	v_cvt_f32_u32_e32 v1, s13
	s_load_dwordx4 s[52:55], s[4:5], 0x38
	s_load_dwordx2 s[28:29], s[4:5], 0x48
	s_load_dwordx8 s[36:43], s[4:5], 0x58
	s_load_dwordx2 s[30:31], s[4:5], 0x88
	s_load_dwordx4 s[56:59], s[4:5], 0x78
	s_sub_i32 s4, 0, s13
	v_rcp_iflag_f32_e32 v1, v1
	s_abs_i32 s16, s8
	s_ashr_i32 s14, s8, 31
	s_ashr_i32 s15, s12, 31
	v_mul_f32_e32 v1, 0x4f7ffffe, v1
	v_cvt_u32_f32_e32 v1, v1
	s_mov_b32 s66, 0
	v_cmp_eq_u32_e64 s[6:7], 0, v0
	v_readfirstlane_b32 s5, v1
	s_mul_i32 s4, s4, s5
	s_mul_hi_u32 s4, s5, s4
	s_add_i32 s5, s5, s4
	s_mul_hi_u32 s17, s16, s5
	v_cmp_ne_u32_e64 s[4:5], 0, v0
	s_and_saveexec_b64 s[10:11], s[6:7]
	s_cbranch_execz .LBB7_2
; %bb.1:
	v_mov_b32_e32 v2, 0x7f
	v_mov_b32_e32 v3, 3
	;; [unrolled: 1-line block ×3, first 2 shown]
	ds_write_b64 v1, v[2:3] offset:36944
.LBB7_2:
	s_or_b64 exec, exec, s[10:11]
	s_mul_i32 s11, s17, s13
	s_sub_i32 s11, s16, s11
	s_xor_b32 s10, s14, s15
	s_add_i32 s14, s17, 1
	s_sub_i32 s15, s11, s13
	s_cmp_ge_u32 s11, s13
	s_cselect_b32 s14, s14, s17
	s_cselect_b32 s11, s15, s11
	s_add_i32 s15, s14, 1
	s_cmp_ge_u32 s11, s13
	s_cselect_b32 s11, s15, s14
	s_xor_b32 s11, s11, s10
	s_sub_i32 s63, s11, s10
	s_mul_i32 s10, s63, s12
	s_sub_i32 s62, s8, s10
	s_waitcnt lgkmcnt(0)
	s_mul_i32 s10, s63, s56
	s_ashr_i32 s11, s10, 31
	s_lshl_b32 s64, s9, 9
	s_lshl_b64 s[60:61], s[10:11], 2
	s_add_u32 s12, s44, s60
	s_mul_i32 s10, s62, s57
	s_addc_u32 s13, s45, s61
	s_ashr_i32 s11, s10, 31
	s_lshl_b64 s[44:45], s[10:11], 2
	s_add_u32 s10, s12, s44
	v_lshlrev_b32_e32 v1, 2, v0
	s_addc_u32 s11, s13, s45
	v_or_b32_e32 v2, s64, v1
	s_add_u32 s12, s46, s60
	v_ashrrev_i32_e32 v3, 31, v2
	s_addc_u32 s13, s47, s61
	v_lshlrev_b64 v[6:7], 2, v[2:3]
	s_add_u32 s12, s12, s44
	v_mov_b32_e32 v3, s11
	v_add_co_u32_e32 v2, vcc, s10, v6
	s_addc_u32 s13, s13, s45
	v_addc_co_u32_e32 v3, vcc, v3, v7, vcc
	v_mov_b32_e32 v9, s13
	v_add_co_u32_e32 v8, vcc, s12, v6
	v_addc_co_u32_e32 v9, vcc, v9, v7, vcc
	s_barrier
	global_load_dwordx4 v[2:5], v[2:3], off
	s_mul_i32 s56, s63, s58
	global_load_dwordx4 v[8:11], v[8:9], off
	s_mul_i32 s57, s63, s30
	s_ashr_i32 s63, s62, 31
	s_mul_i32 s58, s62, s31
	s_lshl_b64 s[30:31], s[62:63], 2
	s_add_u32 s28, s28, s30
	s_addc_u32 s29, s29, s31
	s_add_i32 s46, 0, 0x810
	s_load_dword s28, s[28:29], 0x0
	s_add_u32 s30, s54, s30
	s_addc_u32 s31, s55, s31
	s_lshl_b32 s54, s62, 3
	v_lshlrev_b32_e32 v14, 4, v0
	s_cmp_lg_u32 s9, 0
	v_mov_b32_e32 v32, 0
	v_add_u32_e32 v34, 0, v14
	v_add_u32_e32 v40, s46, v14
	s_cselect_b64 s[46:47], -1, 0
	s_add_i32 s58, s58, s57
	s_ashr_i32 s67, s9, 31
	ds_read_b64 v[12:13], v32 offset:36944
	v_add3_u32 v35, 0, 16, v14
	v_add_u32_e32 v36, 0x810, v34
	s_add_u32 s68, s40, -4
	v_mbcnt_lo_u32_b32 v15, -1, 0
	s_addc_u32 s69, s41, -1
	v_mbcnt_hi_u32_b32 v15, -1, v15
	s_add_u32 s70, s42, -4
	v_or_b32_e32 v16, 63, v0
	v_lshrrev_b32_e32 v17, 3, v0
	v_add_u32_e32 v19, -1, v15
	v_and_b32_e32 v20, 64, v15
	s_addc_u32 s71, s43, -1
	s_mul_i32 s8, s8, s33
	s_ashr_i32 s55, s54, 31
	v_cmp_eq_u32_e64 s[12:13], v16, v0
	v_and_b32_e32 v16, 8, v17
	v_and_b32_e32 v17, 15, v15
	v_cmp_lt_i32_e32 vcc, v19, v20
	s_add_i32 s56, s56, s64
	s_lshl_b32 s8, s8, 3
	s_lshl_b64 s[54:55], s[54:55], 2
	v_and_b32_e32 v18, 16, v15
	v_add_u32_e32 v37, 0, v16
	v_and_b32_e32 v16, 1, v15
	v_cmp_eq_u32_e64 s[16:17], 0, v17
	v_cmp_lt_u32_e64 s[18:19], 1, v17
	v_cmp_lt_u32_e64 s[20:21], 3, v17
	;; [unrolled: 1-line block ×3, first 2 shown]
	v_cndmask_b32_e32 v17, v19, v15, vcc
	s_add_u32 s48, s48, s54
	v_cmp_gt_u32_e64 s[34:35], 2, v0
	s_waitcnt vmcnt(1)
	ds_write2_b32 v34, v2, v3 offset0:4 offset1:5
	ds_write2_b32 v35, v4, v5 offset0:2 offset1:3
	v_cmp_lt_u32_e64 s[10:11], 63, v0
	s_waitcnt vmcnt(0) lgkmcnt(0)
	v_pk_add_f32 v[2:3], v[8:9], s[28:29] op_sel_hi:[1,0]
	v_pk_add_f32 v[4:5], v[10:11], s[28:29] op_sel_hi:[1,0]
	ds_write2_b32 v36, v2, v3 offset1:1
	ds_write2_b32 v40, v4, v5 offset0:2 offset1:3
	s_waitcnt lgkmcnt(0)
	s_barrier
	s_load_dword s28, s[30:31], 0x0
	ds_read2_b32 v[2:3], v34 offset0:4 offset1:5
	ds_read2_b32 v[4:5], v35 offset0:2 offset1:3
	v_lshlrev_b32_e32 v8, 3, v13
	v_lshl_add_u32 v33, v0, 3, 0
	v_cmp_lt_u32_e64 s[14:15], 31, v15
	v_cmp_eq_u32_e64 s[24:25], 0, v18
	v_cmp_eq_u32_e64 s[26:27], 0, v16
	v_add_u32_e32 v38, -8, v37
	v_lshlrev_b32_e32 v39, 2, v17
	s_waitcnt lgkmcnt(0)
	v_pk_mul_f32 v[4:5], s[28:29], v[4:5] op_sel_hi:[0,1]
	v_pk_mul_f32 v[2:3], s[28:29], v[2:3] op_sel_hi:[0,1]
	v_cmp_eq_u32_e64 s[28:29], 0, v15
	v_cmp_eq_u32_e64 s[30:31], v0, v12
	v_add_u32_e32 v41, 0, v8
	v_add_u32_e32 v42, 0x1010, v34
	;; [unrolled: 1-line block ×3, first 2 shown]
	s_addc_u32 s49, s49, s55
	s_add_i32 s72, 0, 0x9010
	v_mov_b32_e32 v43, s51
	v_mov_b32_e32 v44, s53
	s_mov_b32 s54, s58
	s_branch .LBB7_4
.LBB7_3:                                ;   in Loop: Header=BB7_4 Depth=1
	s_or_b64 exec, exec, s[56:57]
	s_add_i32 s72, s72, 4
	s_addk_i32 s66, 0x800
	s_add_i32 s54, s54, 1
	s_add_i32 s8, s8, s33
	v_mov_b32_e32 v10, v11
	s_add_u32 s48, s48, 4
	s_waitcnt vmcnt(4)
	v_pk_fma_f32 v[18:19], v[10:11], v[18:19], v[20:21] op_sel_hi:[0,1,1]
	s_waitcnt vmcnt(0)
	v_pk_fma_f32 v[10:11], v[10:11], v[12:13], v[14:15] op_sel_hi:[0,1,1]
	s_addc_u32 s49, s49, 0
	s_waitcnt lgkmcnt(1)
	v_pk_fma_f32 v[2:3], v[22:23], v[18:19], v[2:3]
	s_waitcnt lgkmcnt(0)
	v_pk_fma_f32 v[4:5], v[16:17], v[10:11], v[4:5]
	s_cmpk_eq_i32 s66, 0x4000
	v_add_u32_e32 v8, s59, v8
	s_barrier
	s_cbranch_scc1 .LBB7_22
.LBB7_4:                                ; =>This Inner Loop Header: Depth=1
	s_and_saveexec_b64 s[56:57], s[6:7]
	s_cbranch_execz .LBB7_9
; %bb.5:                                ;   in Loop: Header=BB7_4 Depth=1
	s_and_b64 vcc, exec, s[46:47]
	s_cbranch_vccz .LBB7_21
; %bb.6:                                ;   in Loop: Header=BB7_4 Depth=1
	s_ashr_i32 s51, s8, 31
	s_add_u32 s62, s9, s8
	s_addc_u32 s63, s67, s51
	s_lshl_b64 s[62:63], s[62:63], 2
	s_add_u32 s64, s68, s62
	s_addc_u32 s65, s69, s63
	global_load_dword v1, v32, s[64:65]
	s_add_u32 s62, s70, s62
	s_addc_u32 s63, s71, s63
	s_cbranch_execnz .LBB7_8
.LBB7_7:                                ;   in Loop: Header=BB7_4 Depth=1
	s_ashr_i32 s55, s54, 31
	s_lshl_b64 s[62:63], s[54:55], 2
	s_add_u32 s62, s36, s62
	s_addc_u32 s63, s37, s63
	s_waitcnt vmcnt(0)
	v_mov_b32_e32 v1, 1.0
.LBB7_8:                                ;   in Loop: Header=BB7_4 Depth=1
	global_load_dword v9, v32, s[62:63]
	v_mov_b32_e32 v10, s72
	s_waitcnt vmcnt(0)
	ds_write2_b32 v10, v1, v9 offset1:8
.LBB7_9:                                ;   in Loop: Header=BB7_4 Depth=1
	s_or_b64 exec, exec, s[56:57]
	v_ashrrev_i32_e32 v9, 31, v8
	v_lshlrev_b64 v[14:15], 2, v[8:9]
	v_add_co_u32_e32 v10, vcc, s50, v14
	v_addc_co_u32_e32 v11, vcc, v43, v15, vcc
	v_add_co_u32_e32 v14, vcc, s52, v14
	global_load_dwordx4 v[10:13], v[10:11], off
	v_addc_co_u32_e32 v15, vcc, v44, v15, vcc
	global_load_dwordx4 v[14:17], v[14:15], off
	v_add_u32_e32 v1, s66, v42
	v_add_u32_e32 v9, 0x4000, v1
	;; [unrolled: 1-line block ×3, first 2 shown]
	s_waitcnt vmcnt(1)
	ds_write2_b32 v1, v10, v11 offset1:1
	s_waitcnt vmcnt(0)
	ds_write2_b32 v9, v14, v15 offset1:1
	ds_write2_b32 v1, v12, v13 offset0:2 offset1:3
	ds_write2_b32 v45, v16, v17 offset1:1
	s_waitcnt lgkmcnt(0)
	s_barrier
	global_load_dword v22, v32, s[48:49]
	v_mov_b32_e32 v10, s72
	ds_read2_b32 v[10:11], v10 offset1:8
	ds_read2_b32 v[12:13], v36 offset1:1
	;; [unrolled: 1-line block ×3, first 2 shown]
	ds_read2_b32 v[16:17], v1 offset0:2 offset1:3
	ds_read2_b32 v[18:19], v40 offset0:2 offset1:3
	ds_read2_b32 v[20:21], v34 offset0:4 offset1:5
	ds_read2_b32 v[24:25], v35 offset0:2 offset1:3
	s_waitcnt lgkmcnt(4)
	v_mul_f32_e32 v1, v12, v14
	v_mul_f32_e32 v14, v13, v15
	s_waitcnt lgkmcnt(2)
	v_mul_f32_e32 v15, v18, v16
	s_waitcnt lgkmcnt(1)
	v_mul_f32_e32 v46, v20, v1
	v_mul_f32_e32 v23, v21, v14
	v_mul_f32_e32 v16, v19, v17
	s_waitcnt lgkmcnt(0)
	v_mul_f32_e32 v47, v24, v15
	v_mul_f32_e32 v21, v25, v16
	s_waitcnt vmcnt(0)
	v_mul_f32_e32 v1, v12, v22
	v_mul_f32_e32 v12, v13, v22
	;; [unrolled: 1-line block ×6, first 2 shown]
	v_exp_f32_e32 v22, v12
	v_mul_f32_e32 v13, 0x3fb8aa3b, v13
	v_exp_f32_e32 v12, v1
	v_mul_f32_e32 v14, 0x3fb8aa3b, v14
	v_exp_f32_e32 v26, v13
	v_exp_f32_e32 v27, v14
	v_mul_f32_e32 v13, v46, v22
	v_pk_mul_f32 v[14:15], v[12:13], v[22:23]
	v_pk_add_f32 v[16:17], v[12:13], v[22:23]
	v_fma_f32 v19, v17, v26, v47
	v_mov_b32_e32 v18, v14
	v_mov_b32_e32 v20, v27
	;; [unrolled: 1-line block ×3, first 2 shown]
	v_pk_mul_f32 v[16:17], v[18:19], v[26:27]
	v_pk_fma_f32 v[28:29], v[18:19], v[26:27], v[20:21]
	v_pk_mul_f32 v[24:25], v[16:17], v[20:21]
	s_nop 0
	v_mov_b32_dpp v13, v29 row_shr:1 row_mask:0xf bank_mask:0xf
	v_mov_b32_dpp v15, v24 row_shr:1 row_mask:0xf bank_mask:0xf
	v_fma_f32 v13, v24, v13, v29
	v_mul_f32_e32 v15, v24, v15
	v_cndmask_b32_e64 v13, v13, v29, s[16:17]
	v_cndmask_b32_e64 v15, v15, v24, s[16:17]
	s_nop 0
	v_mov_b32_dpp v17, v13 row_shr:2 row_mask:0xf bank_mask:0xf
	v_mov_b32_dpp v18, v15 row_shr:2 row_mask:0xf bank_mask:0xf
	v_fma_f32 v17, v15, v17, v13
	v_mul_f32_e32 v18, v15, v18
	v_cndmask_b32_e64 v13, v13, v17, s[18:19]
	v_cndmask_b32_e64 v15, v15, v18, s[18:19]
	;; [unrolled: 7-line block ×4, first 2 shown]
	s_nop 0
	v_mov_b32_dpp v17, v13 row_bcast:15 row_mask:0xf bank_mask:0xf
	v_mov_b32_dpp v18, v15 row_bcast:15 row_mask:0xf bank_mask:0xf
	v_fma_f32 v17, v15, v17, v13
	v_mul_f32_e32 v18, v15, v18
	v_cndmask_b32_e64 v17, v17, v13, s[24:25]
	v_cndmask_b32_e64 v18, v18, v15, s[24:25]
	s_nop 0
	v_mov_b32_dpp v13, v17 row_bcast:31 row_mask:0xf bank_mask:0xf
	v_mov_b32_dpp v15, v18 row_bcast:31 row_mask:0xf bank_mask:0xf
	v_fma_f32 v20, v18, v13, v17
	v_mul_f32_e32 v25, v18, v15
	v_cndmask_b32_e64 v13, v17, v20, s[14:15]
	v_cndmask_b32_e64 v15, v18, v25, s[14:15]
	s_and_saveexec_b64 s[56:57], s[12:13]
	s_cbranch_execz .LBB7_11
; %bb.10:                               ;   in Loop: Header=BB7_4 Depth=1
	v_cndmask_b32_e64 v17, v17, v20, s[14:15]
	v_cndmask_b32_e64 v18, v18, v25, s[14:15]
	ds_write2_b32 v37, v18, v17 offset1:1
.LBB7_11:                               ;   in Loop: Header=BB7_4 Depth=1
	s_or_b64 exec, exec, s[56:57]
	s_waitcnt lgkmcnt(0)
	s_barrier
	s_and_saveexec_b64 s[56:57], s[34:35]
	s_cbranch_execz .LBB7_13
; %bb.12:                               ;   in Loop: Header=BB7_4 Depth=1
	ds_read2_b32 v[30:31], v33 offset1:1
	s_waitcnt lgkmcnt(0)
	s_nop 0
	v_mov_b32_dpp v17, v30 row_shr:1 row_mask:0xf bank_mask:0xf
	v_mov_b32_dpp v18, v31 row_shr:1 row_mask:0xf bank_mask:0xf
	v_fma_f32 v18, v30, v18, v31
	v_mul_f32_e32 v17, v30, v17
	v_cndmask_b32_e64 v17, v17, v30, s[26:27]
	v_cndmask_b32_e64 v18, v18, v31, s[26:27]
	ds_write2_b32 v33, v17, v18 offset1:1
.LBB7_13:                               ;   in Loop: Header=BB7_4 Depth=1
	s_or_b64 exec, exec, s[56:57]
	s_waitcnt lgkmcnt(0)
	s_barrier
	s_waitcnt lgkmcnt(0)
                                        ; implicit-def: $vgpr30
	s_and_saveexec_b64 s[56:57], s[10:11]
	s_cbranch_execz .LBB7_15
; %bb.14:                               ;   in Loop: Header=BB7_4 Depth=1
	ds_read2_b32 v[30:31], v38 offset1:1
	s_waitcnt lgkmcnt(0)
	v_mul_f32_e32 v17, v15, v30
	v_fmac_f32_e32 v13, v15, v31
	v_mov_b32_e32 v15, v17
.LBB7_15:                               ;   in Loop: Header=BB7_4 Depth=1
	s_or_b64 exec, exec, s[56:57]
	ds_bpermute_b32 v15, v39, v15
	ds_bpermute_b32 v13, v39, v13
	s_and_saveexec_b64 s[56:57], s[4:5]
	s_xor_b64 s[56:57], exec, s[56:57]
	s_cbranch_execz .LBB7_17
; %bb.16:                               ;   in Loop: Header=BB7_4 Depth=1
	s_waitcnt lgkmcnt(1)
	v_cndmask_b32_e64 v1, v15, v30, s[28:29]
	v_mul_f32_e32 v24, v12, v1
	s_waitcnt lgkmcnt(0)
	v_cndmask_b32_e64 v1, v13, v31, s[28:29]
	v_fmac_f32_e32 v46, v12, v1
	v_fmac_f32_e32 v23, v46, v22
	v_mov_b32_e32 v25, v23
	v_mov_b32_e32 v12, v22
	;; [unrolled: 1-line block ×3, first 2 shown]
	v_pk_mul_f32 v[14:15], v[24:25], v[12:13]
	v_mul_f32_e32 v16, v14, v26
	v_add_f32_e32 v19, v15, v47
	v_mul_f32_e32 v20, v16, v27
	v_fmac_f32_e32 v21, v19, v27
	v_mov_b32_e32 v25, v46
	;;#ASMSTART
	;;#ASMEND
	v_mov_b32_e32 v1, v23
	v_pk_mov_b32 v[12:13], v[24:25], v[24:25] op_sel:[0,1]
	v_pk_mov_b32 v[24:25], v[20:21], v[20:21] op_sel:[0,1]
                                        ; implicit-def: $vgpr28_vgpr29
                                        ; implicit-def: $vgpr46
.LBB7_17:                               ;   in Loop: Header=BB7_4 Depth=1
	s_andn2_saveexec_b64 s[56:57], s[56:57]
	s_cbranch_execz .LBB7_19
; %bb.18:                               ;   in Loop: Header=BB7_4 Depth=1
	v_mov_b32_e32 v25, v29
	s_waitcnt lgkmcnt(0)
	v_mov_b32_e32 v13, v46
.LBB7_19:                               ;   in Loop: Header=BB7_4 Depth=1
	s_or_b64 exec, exec, s[56:57]
	s_waitcnt lgkmcnt(0)
	buffer_store_dword v13, off, s[0:3], 0 offset:4
	buffer_store_dword v12, off, s[0:3], 0
	buffer_store_dword v1, off, s[0:3], 0 offset:12
	buffer_store_dword v14, off, s[0:3], 0 offset:8
	;; [unrolled: 1-line block ×6, first 2 shown]
	s_barrier
	buffer_load_dword v18, off, s[0:3], 0
	buffer_load_dword v20, off, s[0:3], 0 offset:4
	buffer_load_dword v19, off, s[0:3], 0 offset:8
	buffer_load_dword v21, off, s[0:3], 0 offset:12
	buffer_load_dword v12, off, s[0:3], 0 offset:16
	buffer_load_dword v14, off, s[0:3], 0 offset:20
	buffer_load_dword v13, off, s[0:3], 0 offset:24
	buffer_load_dword v15, off, s[0:3], 0 offset:28
	ds_read2_b32 v[22:23], v9 offset1:1
	ds_read2_b32 v[16:17], v45 offset1:1
	s_and_saveexec_b64 s[56:57], s[30:31]
	s_cbranch_execz .LBB7_3
; %bb.20:                               ;   in Loop: Header=BB7_4 Depth=1
	buffer_load_dword v1, v41, s[0:3], 0 offen
	buffer_load_dword v9, v41, s[0:3], 0 offen offset:4
	s_add_i32 s62, s9, s8
	s_ashr_i32 s63, s62, 31
	s_lshl_b64 s[62:63], s[62:63], 2
	s_add_u32 s64, s40, s62
	s_addc_u32 s65, s41, s63
	v_mov_b32_e32 v24, s72
	s_add_u32 s62, s42, s62
	s_addc_u32 s63, s43, s63
	s_waitcnt vmcnt(1)
	v_mul_f32_e32 v10, v10, v1
	s_waitcnt vmcnt(0)
	v_fmac_f32_e32 v9, v11, v1
	global_store_dword v32, v10, s[64:65]
	global_store_dword v32, v9, s[62:63]
	ds_write2_b32 v24, v10, v9 offset1:8
	s_branch .LBB7_3
.LBB7_21:                               ;   in Loop: Header=BB7_4 Depth=1
                                        ; implicit-def: $sgpr62_sgpr63
                                        ; implicit-def: $vgpr1
	s_branch .LBB7_7
.LBB7_22:
	s_add_u32 s4, s38, s60
	s_addc_u32 s5, s39, s61
	s_add_u32 s4, s4, s44
	s_addc_u32 s5, s5, s45
	v_mov_b32_e32 v1, s5
	v_add_co_u32_e32 v6, vcc, s4, v6
	s_add_i32 s33, s33, -1
	v_addc_co_u32_e32 v7, vcc, v1, v7, vcc
	s_cmp_eq_u32 s9, s33
	s_cselect_b64 s[4:5], -1, 0
	v_cmp_gt_u32_e32 vcc, 8, v0
	s_and_b64 s[4:5], vcc, s[4:5]
	global_store_dwordx4 v[6:7], v[2:5], off
	s_and_saveexec_b64 s[6:7], s[4:5]
	s_cbranch_execz .LBB7_24
; %bb.23:
	v_lshl_add_u32 v1, v0, 2, 0
	ds_read_b32 v2, v1 offset:36912
	v_add_u32_e32 v0, s58, v0
	v_ashrrev_i32_e32 v1, 31, v0
	v_lshlrev_b64 v[0:1], 2, v[0:1]
	v_mov_b32_e32 v3, s37
	v_add_co_u32_e32 v0, vcc, s36, v0
	v_addc_co_u32_e32 v1, vcc, v3, v1, vcc
	s_waitcnt lgkmcnt(0)
	global_store_dword v[0:1], v2, off
.LBB7_24:
	s_endpgm
	.section	.rodata,"a",@progbits
	.p2align	6, 0x0
	.amdhsa_kernel _Z26selective_scan_vllm_kernelI18SSMFwdKernelTraitsILi128ELi4ELi8ELb0ELb0ELb1EEEv13SSMParamsBase
		.amdhsa_group_segment_fixed_size 0
		.amdhsa_private_segment_fixed_size 48
		.amdhsa_kernarg_size 144
		.amdhsa_user_sgpr_count 8
		.amdhsa_user_sgpr_private_segment_buffer 1
		.amdhsa_user_sgpr_dispatch_ptr 0
		.amdhsa_user_sgpr_queue_ptr 0
		.amdhsa_user_sgpr_kernarg_segment_ptr 1
		.amdhsa_user_sgpr_dispatch_id 0
		.amdhsa_user_sgpr_flat_scratch_init 1
		.amdhsa_user_sgpr_kernarg_preload_length 0
		.amdhsa_user_sgpr_kernarg_preload_offset 0
		.amdhsa_user_sgpr_private_segment_size 0
		.amdhsa_uses_dynamic_stack 0
		.amdhsa_system_sgpr_private_segment_wavefront_offset 1
		.amdhsa_system_sgpr_workgroup_id_x 1
		.amdhsa_system_sgpr_workgroup_id_y 1
		.amdhsa_system_sgpr_workgroup_id_z 0
		.amdhsa_system_sgpr_workgroup_info 0
		.amdhsa_system_vgpr_workitem_id 0
		.amdhsa_next_free_vgpr 48
		.amdhsa_next_free_sgpr 73
		.amdhsa_accum_offset 48
		.amdhsa_reserve_vcc 1
		.amdhsa_reserve_flat_scratch 0
		.amdhsa_float_round_mode_32 0
		.amdhsa_float_round_mode_16_64 0
		.amdhsa_float_denorm_mode_32 3
		.amdhsa_float_denorm_mode_16_64 3
		.amdhsa_dx10_clamp 1
		.amdhsa_ieee_mode 1
		.amdhsa_fp16_overflow 0
		.amdhsa_tg_split 0
		.amdhsa_exception_fp_ieee_invalid_op 0
		.amdhsa_exception_fp_denorm_src 0
		.amdhsa_exception_fp_ieee_div_zero 0
		.amdhsa_exception_fp_ieee_overflow 0
		.amdhsa_exception_fp_ieee_underflow 0
		.amdhsa_exception_fp_ieee_inexact 0
		.amdhsa_exception_int_div_zero 0
	.end_amdhsa_kernel
	.section	.text._Z26selective_scan_vllm_kernelI18SSMFwdKernelTraitsILi128ELi4ELi8ELb0ELb0ELb1EEEv13SSMParamsBase,"axG",@progbits,_Z26selective_scan_vllm_kernelI18SSMFwdKernelTraitsILi128ELi4ELi8ELb0ELb0ELb1EEEv13SSMParamsBase,comdat
.Lfunc_end7:
	.size	_Z26selective_scan_vllm_kernelI18SSMFwdKernelTraitsILi128ELi4ELi8ELb0ELb0ELb1EEEv13SSMParamsBase, .Lfunc_end7-_Z26selective_scan_vllm_kernelI18SSMFwdKernelTraitsILi128ELi4ELi8ELb0ELb0ELb1EEEv13SSMParamsBase
                                        ; -- End function
	.section	.AMDGPU.csdata,"",@progbits
; Kernel info:
; codeLenInByte = 2416
; NumSgprs: 77
; NumVgprs: 48
; NumAgprs: 0
; TotalNumVgprs: 48
; ScratchSize: 48
; MemoryBound: 0
; FloatMode: 240
; IeeeMode: 1
; LDSByteSize: 0 bytes/workgroup (compile time only)
; SGPRBlocks: 9
; VGPRBlocks: 5
; NumSGPRsForWavesPerEU: 77
; NumVGPRsForWavesPerEU: 48
; AccumOffset: 48
; Occupancy: 8
; WaveLimiterHint : 0
; COMPUTE_PGM_RSRC2:SCRATCH_EN: 1
; COMPUTE_PGM_RSRC2:USER_SGPR: 8
; COMPUTE_PGM_RSRC2:TRAP_HANDLER: 0
; COMPUTE_PGM_RSRC2:TGID_X_EN: 1
; COMPUTE_PGM_RSRC2:TGID_Y_EN: 1
; COMPUTE_PGM_RSRC2:TGID_Z_EN: 0
; COMPUTE_PGM_RSRC2:TIDIG_COMP_CNT: 0
; COMPUTE_PGM_RSRC3_GFX90A:ACCUM_OFFSET: 11
; COMPUTE_PGM_RSRC3_GFX90A:TG_SPLIT: 0
	.section	.text._Z26selective_scan_vllm_kernelI18SSMFwdKernelTraitsILi128ELi4ELi8ELb0ELb0ELb0EEEv13SSMParamsBase,"axG",@progbits,_Z26selective_scan_vllm_kernelI18SSMFwdKernelTraitsILi128ELi4ELi8ELb0ELb0ELb0EEEv13SSMParamsBase,comdat
	.protected	_Z26selective_scan_vllm_kernelI18SSMFwdKernelTraitsILi128ELi4ELi8ELb0ELb0ELb0EEEv13SSMParamsBase ; -- Begin function _Z26selective_scan_vllm_kernelI18SSMFwdKernelTraitsILi128ELi4ELi8ELb0ELb0ELb0EEEv13SSMParamsBase
	.globl	_Z26selective_scan_vllm_kernelI18SSMFwdKernelTraitsILi128ELi4ELi8ELb0ELb0ELb0EEEv13SSMParamsBase
	.p2align	8
	.type	_Z26selective_scan_vllm_kernelI18SSMFwdKernelTraitsILi128ELi4ELi8ELb0ELb0ELb0EEEv13SSMParamsBase,@function
_Z26selective_scan_vllm_kernelI18SSMFwdKernelTraitsILi128ELi4ELi8ELb0ELb0ELb0EEEv13SSMParamsBase: ; @_Z26selective_scan_vllm_kernelI18SSMFwdKernelTraitsILi128ELi4ELi8ELb0ELb0ELb0EEEv13SSMParamsBase
; %bb.0:
	s_load_dwordx2 s[14:15], s[4:5], 0x4
	s_add_u32 s0, s0, s10
	s_addc_u32 s1, s1, 0
	s_load_dwordx8 s[44:51], s[4:5], 0x18
	s_load_dwordx4 s[60:63], s[4:5], 0x38
	s_load_dwordx2 s[10:11], s[4:5], 0x48
	s_load_dwordx2 s[36:37], s[4:5], 0x88
	s_load_dwordx4 s[64:67], s[4:5], 0x78
	s_waitcnt lgkmcnt(0)
	s_abs_i32 s17, s14
	v_cvt_f32_u32_e32 v1, s17
	s_sub_i32 s6, 0, s17
	s_abs_i32 s18, s8
	s_ashr_i32 s19, s8, 31
	v_rcp_iflag_f32_e32 v1, v1
	s_lshl_b32 s16, s9, 9
	s_ashr_i32 s20, s14, 31
	v_cmp_ne_u32_e64 s[42:43], 0, v0
	v_mul_f32_e32 v1, 0x4f7ffffe, v1
	v_cvt_u32_f32_e32 v1, v1
	v_readfirstlane_b32 s7, v1
	s_mul_i32 s6, s6, s7
	s_mul_hi_u32 s6, s7, s6
	s_add_i32 s7, s7, s6
	s_mul_hi_u32 s21, s18, s7
	v_cmp_eq_u32_e64 s[6:7], 0, v0
	s_and_saveexec_b64 s[12:13], s[6:7]
	s_cbranch_execz .LBB8_2
; %bb.1:
	s_add_i32 s22, s16, 0x200
	s_min_i32 s22, s22, s15
	s_not_b32 s23, s16
	s_add_i32 s22, s22, s23
	s_ashr_i32 s23, s22, 31
	s_lshr_b32 s23, s23, 30
	s_add_i32 s23, s22, s23
	s_ashr_i32 s24, s23, 2
	s_and_b32 s23, s23, -4
	s_sub_i32 s22, s22, s23
	v_mov_b32_e32 v2, s24
	v_mov_b32_e32 v3, s22
	;; [unrolled: 1-line block ×3, first 2 shown]
	ds_write_b64 v1, v[2:3] offset:36944
.LBB8_2:
	s_or_b64 exec, exec, s[12:13]
	s_mul_i32 s13, s21, s17
	s_sub_i32 s13, s18, s13
	s_xor_b32 s12, s19, s20
	s_add_i32 s18, s21, 1
	s_sub_i32 s19, s13, s17
	s_cmp_ge_u32 s13, s17
	s_cselect_b32 s18, s18, s21
	s_cselect_b32 s13, s19, s13
	s_add_i32 s19, s18, 1
	s_cmp_ge_u32 s13, s17
	s_cselect_b32 s13, s19, s18
	s_xor_b32 s13, s13, s12
	s_sub_i32 s40, s13, s12
	s_mul_i32 s12, s40, s14
	s_sub_i32 s38, s8, s12
	s_mul_i32 s12, s40, s64
	s_ashr_i32 s13, s12, 31
	s_lshl_b64 s[68:69], s[12:13], 2
	s_add_u32 s14, s44, s68
	s_mul_i32 s12, s38, s65
	s_addc_u32 s17, s45, s69
	s_ashr_i32 s13, s12, 31
	s_lshl_b64 s[64:65], s[12:13], 2
	v_mov_b32_e32 v4, 0
	s_add_u32 s25, s14, s64
	s_waitcnt lgkmcnt(0)
	s_barrier
	ds_read_b64 v[8:9], v4 offset:36944
	s_addc_u32 s26, s17, s65
	s_ashr_i32 s39, s38, 31
	v_lshlrev_b32_e32 v1, 2, v0
	s_lshl_b64 s[18:19], s[38:39], 2
	v_add_u32_e32 v2, s16, v1
	s_add_u32 s10, s10, s18
	s_addc_u32 s11, s11, s19
	v_cmp_gt_i32_e64 s[44:45], s15, v2
	v_ashrrev_i32_e32 v3, 31, v2
	v_mov_b32_e32 v5, 0
	s_and_saveexec_b64 s[12:13], s[44:45]
	s_cbranch_execz .LBB8_4
; %bb.3:
	v_lshlrev_b64 v[6:7], 2, v[2:3]
	v_mov_b32_e32 v5, s26
	v_add_co_u32_e32 v6, vcc, s25, v6
	v_addc_co_u32_e32 v7, vcc, v5, v7, vcc
	global_load_dword v5, v[6:7], off
.LBB8_4:
	s_or_b64 exec, exec, s[12:13]
	s_load_dword s22, s[10:11], 0x0
	s_add_u32 s10, s46, s68
	s_addc_u32 s11, s47, s69
	s_add_u32 s23, s10, s64
	s_addc_u32 s24, s11, s65
	s_and_saveexec_b64 s[10:11], s[44:45]
	s_cbranch_execz .LBB8_6
; %bb.5:
	v_lshlrev_b64 v[6:7], 2, v[2:3]
	v_mov_b32_e32 v4, s24
	v_add_co_u32_e32 v6, vcc, s23, v6
	v_addc_co_u32_e32 v7, vcc, v4, v7, vcc
	global_load_dword v4, v[6:7], off
.LBB8_6:
	s_or_b64 exec, exec, s[10:11]
	v_lshl_add_u32 v30, v1, 2, 0
	s_waitcnt vmcnt(0) lgkmcnt(0)
	v_add_f32_e32 v4, s22, v4
	v_add_u32_e32 v6, 16, v30
	ds_write2st64_b32 v6, v5, v4 offset1:8
	v_or_b32_e32 v4, 1, v2
	v_cmp_gt_i32_e64 s[10:11], s15, v4
	v_mov_b32_e32 v5, 0
	v_mov_b32_e32 v4, 0
	s_and_saveexec_b64 s[12:13], s[10:11]
	s_cbranch_execz .LBB8_8
; %bb.7:
	v_lshlrev_b64 v[6:7], 2, v[2:3]
	v_mov_b32_e32 v4, s26
	v_add_co_u32_e32 v6, vcc, s25, v6
	v_addc_co_u32_e32 v7, vcc, v4, v7, vcc
	global_load_dword v4, v[6:7], off offset:4
.LBB8_8:
	s_or_b64 exec, exec, s[12:13]
	s_and_saveexec_b64 s[12:13], s[10:11]
	s_cbranch_execz .LBB8_10
; %bb.9:
	v_lshlrev_b64 v[6:7], 2, v[2:3]
	v_mov_b32_e32 v5, s24
	v_add_co_u32_e32 v6, vcc, s23, v6
	v_addc_co_u32_e32 v7, vcc, v5, v7, vcc
	global_load_dword v5, v[6:7], off offset:4
.LBB8_10:
	s_or_b64 exec, exec, s[12:13]
	v_lshlrev_b32_e32 v1, 2, v1
	s_add_i32 s12, 0, 0x810
	v_add3_u32 v31, 0, 16, v1
	v_add_u32_e32 v32, s12, v1
	v_or_b32_e32 v1, 2, v2
	s_waitcnt vmcnt(0)
	v_add_f32_e32 v5, s22, v5
	ds_write_b32 v31, v4 offset:4
	v_cmp_gt_i32_e64 s[12:13], s15, v1
	v_mov_b32_e32 v4, 0
	v_mov_b32_e32 v1, 0
	ds_write_b32 v32, v5 offset:4
	s_and_saveexec_b64 s[16:17], s[12:13]
	s_cbranch_execz .LBB8_12
; %bb.11:
	v_lshlrev_b64 v[6:7], 2, v[2:3]
	v_mov_b32_e32 v1, s26
	v_add_co_u32_e32 v6, vcc, s25, v6
	v_addc_co_u32_e32 v7, vcc, v1, v7, vcc
	global_load_dword v1, v[6:7], off offset:8
.LBB8_12:
	s_or_b64 exec, exec, s[16:17]
	s_and_saveexec_b64 s[16:17], s[12:13]
	s_cbranch_execz .LBB8_14
; %bb.13:
	v_lshlrev_b64 v[4:5], 2, v[2:3]
	v_mov_b32_e32 v6, s24
	v_add_co_u32_e32 v4, vcc, s23, v4
	v_addc_co_u32_e32 v5, vcc, v6, v5, vcc
	global_load_dword v4, v[4:5], off offset:8
.LBB8_14:
	s_or_b64 exec, exec, s[16:17]
	s_waitcnt vmcnt(0)
	v_add_f32_e32 v4, s22, v4
	ds_write_b32 v31, v1 offset:8
	ds_write_b32 v32, v4 offset:8
	v_or_b32_e32 v1, 3, v2
	v_cmp_le_i32_e32 vcc, s15, v1
	v_cmp_gt_i32_e64 s[14:15], s15, v1
	v_mov_b32_e32 v1, 0
	s_and_saveexec_b64 s[20:21], s[14:15]
	s_cbranch_execz .LBB8_16
; %bb.15:
	v_lshlrev_b64 v[4:5], 2, v[2:3]
	v_mov_b32_e32 v1, s26
	v_add_co_u32_e64 v4, s[16:17], s25, v4
	v_addc_co_u32_e64 v5, s[16:17], v1, v5, s[16:17]
	global_load_dword v1, v[4:5], off offset:12
.LBB8_16:
	s_or_b64 exec, exec, s[20:21]
                                        ; implicit-def: $sgpr20
	s_and_saveexec_b64 s[16:17], vcc
	s_xor_b64 s[16:17], exec, s[16:17]
; %bb.17:
	s_mov_b32 s20, 0
; %bb.18:
	s_or_saveexec_b64 s[16:17], s[16:17]
	s_load_dword s33, s[4:5], 0x10
	s_load_dwordx8 s[52:59], s[4:5], 0x58
	v_mov_b32_e32 v4, s20
	s_xor_b64 exec, exec, s[16:17]
	s_cbranch_execz .LBB8_20
; %bb.19:
	v_lshlrev_b64 v[4:5], 2, v[2:3]
	v_mov_b32_e32 v6, s24
	v_add_co_u32_e32 v4, vcc, s23, v4
	v_addc_co_u32_e32 v5, vcc, v6, v5, vcc
	global_load_dword v4, v[4:5], off offset:12
.LBB8_20:
	s_or_b64 exec, exec, s[16:17]
	s_add_u32 s4, s62, s18
	s_waitcnt vmcnt(0)
	v_add_f32_e32 v4, s22, v4
	s_addc_u32 s5, s63, s19
	ds_write_b32 v31, v1 offset:12
	ds_write_b32 v32, v4 offset:12
	s_waitcnt lgkmcnt(0)
	s_barrier
	s_load_dword s4, s[4:5], 0x0
	ds_read2_b32 v[4:5], v31 offset0:2 offset1:3
	ds_read2_b32 v[6:7], v30 offset0:4 offset1:5
	s_lshl_b32 s46, s38, 3
	s_mul_i32 s74, s40, s66
	s_cmp_lg_u32 s9, 0
	s_mul_i32 s40, s40, s36
	s_mul_i32 s66, s38, s37
	s_waitcnt lgkmcnt(0)
	v_pk_mul_f32 v[4:5], s[4:5], v[4:5] op_sel_hi:[0,1]
	v_pk_mul_f32 v[6:7], s[4:5], v[6:7] op_sel_hi:[0,1]
	s_cselect_b64 s[4:5], -1, 0
	s_add_i32 s66, s66, s40
	s_ashr_i32 s76, s9, 31
	s_add_u32 s77, s56, -4
	s_addc_u32 s78, s57, -1
	s_add_u32 s79, s58, -4
	s_addc_u32 s80, s59, -1
	s_add_u32 s81, s50, 4
	s_addc_u32 s82, s51, 0
	v_mbcnt_lo_u32_b32 v1, -1, 0
	s_add_u32 s83, s60, 4
	v_mbcnt_hi_u32_b32 v1, -1, v1
	s_addc_u32 s84, s61, 0
	v_and_b32_e32 v10, 15, v1
	s_add_u32 s85, s50, 8
	v_cmp_eq_u32_e64 s[16:17], 0, v10
	v_cmp_lt_u32_e64 s[18:19], 1, v10
	v_cmp_lt_u32_e64 s[20:21], 3, v10
	;; [unrolled: 1-line block ×3, first 2 shown]
	v_and_b32_e32 v10, 16, v1
	s_addc_u32 s86, s51, 0
	v_cmp_eq_u32_e64 s[24:25], 0, v10
	v_or_b32_e32 v10, 63, v0
	s_add_u32 s87, s60, 8
	v_cmp_eq_u32_e64 s[28:29], v10, v0
	v_add_u32_e32 v10, -1, v1
	v_and_b32_e32 v11, 64, v1
	s_addc_u32 s88, s61, 0
	v_cmp_lt_i32_e32 vcc, v10, v11
	s_add_u32 s89, s50, 12
	v_cndmask_b32_e32 v10, v10, v1, vcc
	s_addc_u32 s90, s51, 0
	v_lshlrev_b32_e32 v33, 2, v10
	v_lshrrev_b32_e32 v10, 3, v0
	s_add_u32 s91, s60, 12
	v_and_b32_e32 v10, 8, v10
	s_addc_u32 s92, s61, 0
	s_mul_i32 s8, s8, s33
	s_ashr_i32 s47, s46, 31
	v_cmp_lt_u32_e64 s[26:27], 31, v1
	v_add_u32_e32 v34, 0, v10
	v_and_b32_e32 v10, 1, v1
	v_cmp_eq_u32_e64 s[38:39], 0, v1
	s_lshl_b32 s8, s8, 3
	s_lshl_b64 s[40:41], s[46:47], 2
	v_lshlrev_b32_e32 v1, 3, v9
	s_add_u32 s46, s48, s40
	v_add_u32_e32 v37, 0, v1
	v_lshl_add_u32 v1, v0, 4, 0
	s_mov_b32 s75, 0
	v_cmp_gt_u32_e64 s[30:31], 2, v0
	v_cmp_lt_u32_e64 s[34:35], 63, v0
	v_lshl_add_u32 v35, v0, 3, 0
	v_cmp_eq_u32_e64 s[36:37], 0, v10
	v_add_u32_e32 v36, -8, v34
	s_addc_u32 s47, s49, s41
	v_cmp_eq_u32_e64 s[40:41], v0, v8
	v_add_u32_e32 v38, 0x1010, v1
	v_mov_b32_e32 v39, 0
	s_mov_b32 s48, s66
	s_branch .LBB8_22
.LBB8_21:                               ;   in Loop: Header=BB8_22 Depth=1
	s_or_b64 exec, exec, s[62:63]
	s_add_i32 s75, s75, 4
	s_add_i32 s74, s74, s67
	;; [unrolled: 1-line block ×4, first 2 shown]
	v_mov_b32_e32 v8, v9
	s_add_u32 s46, s46, 4
	s_waitcnt vmcnt(4)
	v_pk_fma_f32 v[14:15], v[8:9], v[14:15], v[18:19] op_sel_hi:[0,1,1]
	s_waitcnt vmcnt(0)
	v_pk_fma_f32 v[8:9], v[8:9], v[10:11], v[12:13] op_sel_hi:[0,1,1]
	s_addc_u32 s47, s47, 0
	s_waitcnt lgkmcnt(1)
	v_pk_fma_f32 v[6:7], v[20:21], v[14:15], v[6:7]
	s_waitcnt lgkmcnt(0)
	v_pk_fma_f32 v[4:5], v[16:17], v[8:9], v[4:5]
	s_cmp_eq_u32 s75, 32
	v_add_u32_e32 v38, 0x800, v38
	s_barrier
	s_cbranch_scc1 .LBB8_56
.LBB8_22:                               ; =>This Inner Loop Header: Depth=1
	s_and_saveexec_b64 s[62:63], s[6:7]
	s_cbranch_execz .LBB8_27
; %bb.23:                               ;   in Loop: Header=BB8_22 Depth=1
	s_and_b64 vcc, exec, s[4:5]
	s_cbranch_vccz .LBB8_55
; %bb.24:                               ;   in Loop: Header=BB8_22 Depth=1
	s_ashr_i32 s49, s8, 31
	s_add_u32 s70, s9, s8
	s_addc_u32 s71, s76, s49
	s_lshl_b64 s[70:71], s[70:71], 2
	s_add_u32 s72, s77, s70
	s_addc_u32 s73, s78, s71
	global_load_dword v1, v39, s[72:73]
	s_add_u32 s70, s79, s70
	s_addc_u32 s71, s80, s71
	s_cbranch_execnz .LBB8_26
.LBB8_25:                               ;   in Loop: Header=BB8_22 Depth=1
	s_ashr_i32 s49, s48, 31
	s_lshl_b64 s[70:71], s[48:49], 2
	s_add_u32 s70, s52, s70
	s_addc_u32 s71, s53, s71
	s_waitcnt vmcnt(0)
	v_mov_b32_e32 v1, 1.0
.LBB8_26:                               ;   in Loop: Header=BB8_22 Depth=1
	global_load_dword v8, v39, s[70:71]
	s_add_i32 s49, s75, 0
	v_mov_b32_e32 v9, s49
	v_add_u32_e32 v9, 0x9000, v9
	s_waitcnt vmcnt(0)
	ds_write2_b32 v9, v1, v8 offset0:4 offset1:12
.LBB8_27:                               ;   in Loop: Header=BB8_22 Depth=1
	s_or_b64 exec, exec, s[62:63]
	v_add_u32_e32 v8, s74, v2
	v_mov_b32_e32 v1, 0
	v_ashrrev_i32_e32 v9, 31, v8
	v_mov_b32_e32 v10, 0
	s_and_saveexec_b64 s[62:63], s[44:45]
	s_cbranch_execz .LBB8_29
; %bb.28:                               ;   in Loop: Header=BB8_22 Depth=1
	v_lshlrev_b64 v[10:11], 2, v[8:9]
	v_mov_b32_e32 v12, s51
	v_add_co_u32_e32 v10, vcc, s50, v10
	v_addc_co_u32_e32 v11, vcc, v12, v11, vcc
	global_load_dword v10, v[10:11], off
.LBB8_29:                               ;   in Loop: Header=BB8_22 Depth=1
	s_or_b64 exec, exec, s[62:63]
	s_waitcnt vmcnt(0)
	ds_write_b32 v38, v10
	s_and_saveexec_b64 s[62:63], s[44:45]
	s_cbranch_execz .LBB8_31
; %bb.30:                               ;   in Loop: Header=BB8_22 Depth=1
	v_lshlrev_b64 v[8:9], 2, v[8:9]
	v_mov_b32_e32 v1, s61
	v_add_co_u32_e32 v8, vcc, s60, v8
	v_addc_co_u32_e32 v9, vcc, v1, v9, vcc
	global_load_dword v1, v[8:9], off
.LBB8_31:                               ;   in Loop: Header=BB8_22 Depth=1
	s_or_b64 exec, exec, s[62:63]
	s_waitcnt vmcnt(0)
	ds_write_b32 v38, v1 offset:16384
	v_mov_b32_e32 v1, 0
	v_mov_b32_e32 v8, 0
	s_and_saveexec_b64 s[62:63], s[10:11]
	s_cbranch_execz .LBB8_33
; %bb.32:                               ;   in Loop: Header=BB8_22 Depth=1
	s_ashr_i32 s49, s74, 31
	v_mov_b32_e32 v9, s49
	v_add_co_u32_e32 v8, vcc, s74, v2
	v_addc_co_u32_e32 v9, vcc, v9, v3, vcc
	v_lshlrev_b64 v[8:9], 2, v[8:9]
	v_mov_b32_e32 v10, s82
	v_add_co_u32_e32 v8, vcc, s81, v8
	v_addc_co_u32_e32 v9, vcc, v10, v9, vcc
	global_load_dword v8, v[8:9], off
.LBB8_33:                               ;   in Loop: Header=BB8_22 Depth=1
	s_or_b64 exec, exec, s[62:63]
	s_waitcnt vmcnt(0)
	ds_write_b32 v38, v8 offset:4
	s_and_saveexec_b64 s[62:63], s[10:11]
	s_cbranch_execz .LBB8_35
; %bb.34:                               ;   in Loop: Header=BB8_22 Depth=1
	s_ashr_i32 s49, s74, 31
	v_mov_b32_e32 v1, s49
	v_add_co_u32_e32 v8, vcc, s74, v2
	v_addc_co_u32_e32 v9, vcc, v1, v3, vcc
	v_lshlrev_b64 v[8:9], 2, v[8:9]
	v_mov_b32_e32 v1, s84
	v_add_co_u32_e32 v8, vcc, s83, v8
	v_addc_co_u32_e32 v9, vcc, v1, v9, vcc
	global_load_dword v1, v[8:9], off
.LBB8_35:                               ;   in Loop: Header=BB8_22 Depth=1
	s_or_b64 exec, exec, s[62:63]
	s_waitcnt vmcnt(0)
	ds_write_b32 v38, v1 offset:16388
	v_mov_b32_e32 v1, 0
	v_mov_b32_e32 v8, 0
	s_and_saveexec_b64 s[62:63], s[12:13]
	s_cbranch_execz .LBB8_37
; %bb.36:                               ;   in Loop: Header=BB8_22 Depth=1
	s_ashr_i32 s49, s74, 31
	v_mov_b32_e32 v9, s49
	v_add_co_u32_e32 v8, vcc, s74, v2
	v_addc_co_u32_e32 v9, vcc, v9, v3, vcc
	v_lshlrev_b64 v[8:9], 2, v[8:9]
	v_mov_b32_e32 v10, s86
	v_add_co_u32_e32 v8, vcc, s85, v8
	v_addc_co_u32_e32 v9, vcc, v10, v9, vcc
	global_load_dword v8, v[8:9], off
.LBB8_37:                               ;   in Loop: Header=BB8_22 Depth=1
	s_or_b64 exec, exec, s[62:63]
	s_waitcnt vmcnt(0)
	ds_write_b32 v38, v8 offset:8
	s_and_saveexec_b64 s[62:63], s[12:13]
	s_cbranch_execz .LBB8_39
; %bb.38:                               ;   in Loop: Header=BB8_22 Depth=1
	s_ashr_i32 s49, s74, 31
	v_mov_b32_e32 v1, s49
	v_add_co_u32_e32 v8, vcc, s74, v2
	v_addc_co_u32_e32 v9, vcc, v1, v3, vcc
	v_lshlrev_b64 v[8:9], 2, v[8:9]
	v_mov_b32_e32 v1, s88
	v_add_co_u32_e32 v8, vcc, s87, v8
	v_addc_co_u32_e32 v9, vcc, v1, v9, vcc
	global_load_dword v1, v[8:9], off
.LBB8_39:                               ;   in Loop: Header=BB8_22 Depth=1
	;; [unrolled: 34-line block ×3, first 2 shown]
	s_or_b64 exec, exec, s[62:63]
	s_waitcnt vmcnt(0)
	ds_write_b32 v38, v1 offset:16396
	s_waitcnt lgkmcnt(0)
	s_barrier
	global_load_dword v1, v39, s[46:47]
	v_add_u32_e32 v8, 0x810, v30
	ds_read2_b32 v[10:11], v30 offset0:4 offset1:5
	ds_read2_b32 v[12:13], v32 offset0:2 offset1:3
	;; [unrolled: 1-line block ×3, first 2 shown]
	ds_read2_b32 v[16:17], v38 offset1:1
	ds_read2_b32 v[18:19], v38 offset0:2 offset1:3
	ds_read2_b32 v[22:23], v8 offset1:1
	s_add_i32 s49, s75, 0
	v_mov_b32_e32 v9, s49
	v_add_u32_e32 v8, 0x9000, v9
	s_waitcnt lgkmcnt(1)
	v_mul_f32_e32 v18, v12, v18
	s_waitcnt lgkmcnt(0)
	v_mul_f32_e32 v17, v23, v17
	v_mul_f32_e32 v16, v22, v16
	;; [unrolled: 1-line block ×7, first 2 shown]
	ds_read2_b32 v[8:9], v8 offset0:4 offset1:12
	s_waitcnt vmcnt(0)
	v_mul_f32_e32 v11, v23, v1
	v_mul_f32_e32 v10, v22, v1
	;; [unrolled: 1-line block ×5, first 2 shown]
	v_exp_f32_e32 v20, v11
	v_mul_f32_e32 v1, v13, v1
	v_mul_f32_e32 v12, 0x3fb8aa3b, v12
	v_exp_f32_e32 v10, v10
	v_mul_f32_e32 v1, 0x3fb8aa3b, v1
	v_exp_f32_e32 v24, v12
	v_exp_f32_e32 v25, v1
	v_mul_f32_e32 v11, v40, v20
	v_pk_mul_f32 v[12:13], v[10:11], v[20:21]
	v_pk_add_f32 v[14:15], v[10:11], v[20:21]
	v_fma_f32 v17, v15, v24, v41
	v_mov_b32_e32 v16, v12
	v_mov_b32_e32 v18, v25
	;; [unrolled: 1-line block ×3, first 2 shown]
	v_pk_mul_f32 v[14:15], v[16:17], v[24:25]
	v_pk_fma_f32 v[26:27], v[16:17], v[24:25], v[18:19]
	v_pk_mul_f32 v[22:23], v[14:15], v[18:19]
	s_nop 0
	v_mov_b32_dpp v11, v27 row_shr:1 row_mask:0xf bank_mask:0xf
	v_mov_b32_dpp v13, v22 row_shr:1 row_mask:0xf bank_mask:0xf
	v_fma_f32 v11, v22, v11, v27
	v_mul_f32_e32 v13, v22, v13
	v_cndmask_b32_e64 v11, v11, v27, s[16:17]
	v_cndmask_b32_e64 v13, v13, v22, s[16:17]
	s_nop 0
	v_mov_b32_dpp v15, v11 row_shr:2 row_mask:0xf bank_mask:0xf
	v_mov_b32_dpp v16, v13 row_shr:2 row_mask:0xf bank_mask:0xf
	v_fma_f32 v15, v13, v15, v11
	v_mul_f32_e32 v16, v13, v16
	v_cndmask_b32_e64 v11, v11, v15, s[18:19]
	v_cndmask_b32_e64 v13, v13, v16, s[18:19]
	;; [unrolled: 7-line block ×4, first 2 shown]
	s_nop 0
	v_mov_b32_dpp v15, v11 row_bcast:15 row_mask:0xf bank_mask:0xf
	v_mov_b32_dpp v16, v13 row_bcast:15 row_mask:0xf bank_mask:0xf
	v_fma_f32 v15, v13, v15, v11
	v_mul_f32_e32 v16, v13, v16
	v_cndmask_b32_e64 v15, v15, v11, s[24:25]
	v_cndmask_b32_e64 v16, v16, v13, s[24:25]
	s_nop 0
	v_mov_b32_dpp v11, v15 row_bcast:31 row_mask:0xf bank_mask:0xf
	v_mov_b32_dpp v13, v16 row_bcast:31 row_mask:0xf bank_mask:0xf
	v_fma_f32 v18, v16, v11, v15
	v_mul_f32_e32 v23, v16, v13
	v_cndmask_b32_e64 v11, v15, v18, s[26:27]
	v_cndmask_b32_e64 v13, v16, v23, s[26:27]
	s_and_saveexec_b64 s[62:63], s[28:29]
	s_cbranch_execz .LBB8_45
; %bb.44:                               ;   in Loop: Header=BB8_22 Depth=1
	v_cndmask_b32_e64 v15, v15, v18, s[26:27]
	v_cndmask_b32_e64 v16, v16, v23, s[26:27]
	ds_write2_b32 v34, v16, v15 offset1:1
.LBB8_45:                               ;   in Loop: Header=BB8_22 Depth=1
	s_or_b64 exec, exec, s[62:63]
	s_waitcnt lgkmcnt(0)
	s_barrier
	s_and_saveexec_b64 s[62:63], s[30:31]
	s_cbranch_execz .LBB8_47
; %bb.46:                               ;   in Loop: Header=BB8_22 Depth=1
	ds_read2_b32 v[28:29], v35 offset1:1
	s_waitcnt lgkmcnt(0)
	s_nop 0
	v_mov_b32_dpp v15, v28 row_shr:1 row_mask:0xf bank_mask:0xf
	v_mov_b32_dpp v16, v29 row_shr:1 row_mask:0xf bank_mask:0xf
	v_fma_f32 v16, v28, v16, v29
	v_mul_f32_e32 v15, v28, v15
	v_cndmask_b32_e64 v15, v15, v28, s[36:37]
	v_cndmask_b32_e64 v16, v16, v29, s[36:37]
	ds_write2_b32 v35, v15, v16 offset1:1
.LBB8_47:                               ;   in Loop: Header=BB8_22 Depth=1
	s_or_b64 exec, exec, s[62:63]
	s_waitcnt lgkmcnt(0)
	s_barrier
	s_waitcnt lgkmcnt(0)
                                        ; implicit-def: $vgpr28
	s_and_saveexec_b64 s[62:63], s[34:35]
	s_cbranch_execz .LBB8_49
; %bb.48:                               ;   in Loop: Header=BB8_22 Depth=1
	ds_read2_b32 v[28:29], v36 offset1:1
	s_waitcnt lgkmcnt(0)
	v_mul_f32_e32 v15, v13, v28
	v_fmac_f32_e32 v11, v13, v29
	v_mov_b32_e32 v13, v15
.LBB8_49:                               ;   in Loop: Header=BB8_22 Depth=1
	s_or_b64 exec, exec, s[62:63]
	ds_bpermute_b32 v13, v33, v13
	ds_bpermute_b32 v11, v33, v11
	s_and_saveexec_b64 s[62:63], s[42:43]
	s_xor_b64 s[62:63], exec, s[62:63]
	s_cbranch_execz .LBB8_51
; %bb.50:                               ;   in Loop: Header=BB8_22 Depth=1
	s_waitcnt lgkmcnt(1)
	v_cndmask_b32_e64 v1, v13, v28, s[38:39]
	v_mul_f32_e32 v22, v10, v1
	s_waitcnt lgkmcnt(0)
	v_cndmask_b32_e64 v1, v11, v29, s[38:39]
	v_fmac_f32_e32 v40, v10, v1
	v_fmac_f32_e32 v21, v40, v20
	v_mov_b32_e32 v23, v21
	v_mov_b32_e32 v10, v20
	;; [unrolled: 1-line block ×3, first 2 shown]
	v_pk_mul_f32 v[12:13], v[22:23], v[10:11]
	v_mul_f32_e32 v14, v12, v24
	v_add_f32_e32 v17, v13, v41
	v_mul_f32_e32 v18, v14, v25
	v_fmac_f32_e32 v19, v17, v25
	v_mov_b32_e32 v23, v40
	;;#ASMSTART
	;;#ASMEND
	v_mov_b32_e32 v1, v21
	v_pk_mov_b32 v[10:11], v[22:23], v[22:23] op_sel:[0,1]
	v_pk_mov_b32 v[22:23], v[18:19], v[18:19] op_sel:[0,1]
                                        ; implicit-def: $vgpr26_vgpr27
                                        ; implicit-def: $vgpr40
.LBB8_51:                               ;   in Loop: Header=BB8_22 Depth=1
	s_andn2_saveexec_b64 s[62:63], s[62:63]
	s_cbranch_execz .LBB8_53
; %bb.52:                               ;   in Loop: Header=BB8_22 Depth=1
	v_mov_b32_e32 v23, v27
	s_waitcnt lgkmcnt(0)
	v_mov_b32_e32 v11, v40
.LBB8_53:                               ;   in Loop: Header=BB8_22 Depth=1
	s_or_b64 exec, exec, s[62:63]
	s_waitcnt lgkmcnt(0)
	buffer_store_dword v11, off, s[0:3], 0 offset:4
	buffer_store_dword v10, off, s[0:3], 0
	buffer_store_dword v1, off, s[0:3], 0 offset:12
	buffer_store_dword v12, off, s[0:3], 0 offset:8
	;; [unrolled: 1-line block ×6, first 2 shown]
	s_barrier
	buffer_load_dword v14, off, s[0:3], 0
	buffer_load_dword v18, off, s[0:3], 0 offset:4
	buffer_load_dword v15, off, s[0:3], 0 offset:8
	;; [unrolled: 1-line block ×7, first 2 shown]
	v_add_u32_e32 v1, 0x4000, v38
	v_add_u32_e32 v16, 0x4008, v38
	ds_read2_b32 v[20:21], v1 offset1:1
	ds_read2_b32 v[16:17], v16 offset1:1
	s_and_saveexec_b64 s[62:63], s[40:41]
	s_cbranch_execz .LBB8_21
; %bb.54:                               ;   in Loop: Header=BB8_22 Depth=1
	buffer_load_dword v1, v37, s[0:3], 0 offen
	buffer_load_dword v22, v37, s[0:3], 0 offen offset:4
	s_add_i32 s70, s9, s8
	s_ashr_i32 s71, s70, 31
	s_lshl_b64 s[70:71], s[70:71], 2
	s_add_u32 s72, s56, s70
	v_mov_b32_e32 v23, s49
	s_addc_u32 s73, s57, s71
	v_add_u32_e32 v23, 0x9000, v23
	s_add_u32 s70, s58, s70
	s_addc_u32 s71, s59, s71
	s_waitcnt vmcnt(1)
	v_mul_f32_e32 v8, v8, v1
	s_waitcnt vmcnt(0)
	v_fmac_f32_e32 v22, v9, v1
	global_store_dword v39, v8, s[72:73]
	global_store_dword v39, v22, s[70:71]
	ds_write2_b32 v23, v8, v22 offset0:4 offset1:12
	s_branch .LBB8_21
.LBB8_55:                               ;   in Loop: Header=BB8_22 Depth=1
                                        ; implicit-def: $sgpr70_sgpr71
                                        ; implicit-def: $vgpr1
	s_branch .LBB8_25
.LBB8_56:
	s_add_u32 s4, s54, s68
	s_addc_u32 s5, s55, s69
	s_add_u32 s6, s4, s64
	s_addc_u32 s7, s5, s65
	v_lshlrev_b64 v[2:3], 2, v[2:3]
	s_and_saveexec_b64 s[4:5], s[44:45]
	s_cbranch_execnz .LBB8_64
; %bb.57:
	s_or_b64 exec, exec, s[4:5]
	s_and_saveexec_b64 s[4:5], s[10:11]
	s_cbranch_execnz .LBB8_65
.LBB8_58:
	s_or_b64 exec, exec, s[4:5]
	s_and_saveexec_b64 s[4:5], s[12:13]
	s_cbranch_execnz .LBB8_66
.LBB8_59:
	s_or_b64 exec, exec, s[4:5]
	s_and_saveexec_b64 s[4:5], s[14:15]
	s_cbranch_execz .LBB8_61
.LBB8_60:
	v_mov_b32_e32 v1, s7
	v_add_co_u32_e32 v2, vcc, s6, v2
	v_addc_co_u32_e32 v3, vcc, v1, v3, vcc
	global_store_dword v[2:3], v5, off offset:12
.LBB8_61:
	s_or_b64 exec, exec, s[4:5]
	s_add_i32 s33, s33, -1
	s_cmp_eq_u32 s9, s33
	s_cselect_b64 s[4:5], -1, 0
	v_cmp_gt_u32_e32 vcc, 8, v0
	s_and_b64 s[4:5], vcc, s[4:5]
	s_and_saveexec_b64 s[6:7], s[4:5]
	s_cbranch_execz .LBB8_63
; %bb.62:
	v_lshl_add_u32 v1, v0, 2, 0
	ds_read_b32 v2, v1 offset:36912
	v_add_u32_e32 v0, s66, v0
	v_ashrrev_i32_e32 v1, 31, v0
	v_lshlrev_b64 v[0:1], 2, v[0:1]
	v_mov_b32_e32 v3, s53
	v_add_co_u32_e32 v0, vcc, s52, v0
	v_addc_co_u32_e32 v1, vcc, v3, v1, vcc
	s_waitcnt lgkmcnt(0)
	global_store_dword v[0:1], v2, off
.LBB8_63:
	s_endpgm
.LBB8_64:
	v_mov_b32_e32 v1, s7
	v_add_co_u32_e32 v8, vcc, s6, v2
	v_addc_co_u32_e32 v9, vcc, v1, v3, vcc
	global_store_dword v[8:9], v6, off
	s_or_b64 exec, exec, s[4:5]
	s_and_saveexec_b64 s[4:5], s[10:11]
	s_cbranch_execz .LBB8_58
.LBB8_65:
	v_mov_b32_e32 v1, s7
	v_add_co_u32_e32 v8, vcc, s6, v2
	v_addc_co_u32_e32 v9, vcc, v1, v3, vcc
	global_store_dword v[8:9], v7, off offset:4
	s_or_b64 exec, exec, s[4:5]
	s_and_saveexec_b64 s[4:5], s[12:13]
	s_cbranch_execz .LBB8_59
.LBB8_66:
	v_mov_b32_e32 v1, s7
	v_add_co_u32_e32 v6, vcc, s6, v2
	v_addc_co_u32_e32 v7, vcc, v1, v3, vcc
	global_store_dword v[6:7], v4, off offset:8
	s_or_b64 exec, exec, s[4:5]
	s_and_saveexec_b64 s[4:5], s[14:15]
	s_cbranch_execnz .LBB8_60
	s_branch .LBB8_61
	.section	.rodata,"a",@progbits
	.p2align	6, 0x0
	.amdhsa_kernel _Z26selective_scan_vllm_kernelI18SSMFwdKernelTraitsILi128ELi4ELi8ELb0ELb0ELb0EEEv13SSMParamsBase
		.amdhsa_group_segment_fixed_size 0
		.amdhsa_private_segment_fixed_size 48
		.amdhsa_kernarg_size 144
		.amdhsa_user_sgpr_count 8
		.amdhsa_user_sgpr_private_segment_buffer 1
		.amdhsa_user_sgpr_dispatch_ptr 0
		.amdhsa_user_sgpr_queue_ptr 0
		.amdhsa_user_sgpr_kernarg_segment_ptr 1
		.amdhsa_user_sgpr_dispatch_id 0
		.amdhsa_user_sgpr_flat_scratch_init 1
		.amdhsa_user_sgpr_kernarg_preload_length 0
		.amdhsa_user_sgpr_kernarg_preload_offset 0
		.amdhsa_user_sgpr_private_segment_size 0
		.amdhsa_uses_dynamic_stack 0
		.amdhsa_system_sgpr_private_segment_wavefront_offset 1
		.amdhsa_system_sgpr_workgroup_id_x 1
		.amdhsa_system_sgpr_workgroup_id_y 1
		.amdhsa_system_sgpr_workgroup_id_z 0
		.amdhsa_system_sgpr_workgroup_info 0
		.amdhsa_system_vgpr_workitem_id 0
		.amdhsa_next_free_vgpr 42
		.amdhsa_next_free_sgpr 93
		.amdhsa_accum_offset 44
		.amdhsa_reserve_vcc 1
		.amdhsa_reserve_flat_scratch 0
		.amdhsa_float_round_mode_32 0
		.amdhsa_float_round_mode_16_64 0
		.amdhsa_float_denorm_mode_32 3
		.amdhsa_float_denorm_mode_16_64 3
		.amdhsa_dx10_clamp 1
		.amdhsa_ieee_mode 1
		.amdhsa_fp16_overflow 0
		.amdhsa_tg_split 0
		.amdhsa_exception_fp_ieee_invalid_op 0
		.amdhsa_exception_fp_denorm_src 0
		.amdhsa_exception_fp_ieee_div_zero 0
		.amdhsa_exception_fp_ieee_overflow 0
		.amdhsa_exception_fp_ieee_underflow 0
		.amdhsa_exception_fp_ieee_inexact 0
		.amdhsa_exception_int_div_zero 0
	.end_amdhsa_kernel
	.section	.text._Z26selective_scan_vllm_kernelI18SSMFwdKernelTraitsILi128ELi4ELi8ELb0ELb0ELb0EEEv13SSMParamsBase,"axG",@progbits,_Z26selective_scan_vllm_kernelI18SSMFwdKernelTraitsILi128ELi4ELi8ELb0ELb0ELb0EEEv13SSMParamsBase,comdat
.Lfunc_end8:
	.size	_Z26selective_scan_vllm_kernelI18SSMFwdKernelTraitsILi128ELi4ELi8ELb0ELb0ELb0EEEv13SSMParamsBase, .Lfunc_end8-_Z26selective_scan_vllm_kernelI18SSMFwdKernelTraitsILi128ELi4ELi8ELb0ELb0ELb0EEEv13SSMParamsBase
                                        ; -- End function
	.section	.AMDGPU.csdata,"",@progbits
; Kernel info:
; codeLenInByte = 3552
; NumSgprs: 97
; NumVgprs: 42
; NumAgprs: 0
; TotalNumVgprs: 42
; ScratchSize: 48
; MemoryBound: 0
; FloatMode: 240
; IeeeMode: 1
; LDSByteSize: 0 bytes/workgroup (compile time only)
; SGPRBlocks: 12
; VGPRBlocks: 5
; NumSGPRsForWavesPerEU: 97
; NumVGPRsForWavesPerEU: 42
; AccumOffset: 44
; Occupancy: 8
; WaveLimiterHint : 0
; COMPUTE_PGM_RSRC2:SCRATCH_EN: 1
; COMPUTE_PGM_RSRC2:USER_SGPR: 8
; COMPUTE_PGM_RSRC2:TRAP_HANDLER: 0
; COMPUTE_PGM_RSRC2:TGID_X_EN: 1
; COMPUTE_PGM_RSRC2:TGID_Y_EN: 1
; COMPUTE_PGM_RSRC2:TGID_Z_EN: 0
; COMPUTE_PGM_RSRC2:TIDIG_COMP_CNT: 0
; COMPUTE_PGM_RSRC3_GFX90A:ACCUM_OFFSET: 10
; COMPUTE_PGM_RSRC3_GFX90A:TG_SPLIT: 0
	.text
	.p2alignl 6, 3212836864
	.fill 256, 4, 3212836864
	.type	__hip_cuid_7bdeffd135161c64,@object ; @__hip_cuid_7bdeffd135161c64
	.section	.bss,"aw",@nobits
	.globl	__hip_cuid_7bdeffd135161c64
__hip_cuid_7bdeffd135161c64:
	.byte	0                               ; 0x0
	.size	__hip_cuid_7bdeffd135161c64, 1

	.ident	"AMD clang version 19.0.0git (https://github.com/RadeonOpenCompute/llvm-project roc-6.4.0 25133 c7fe45cf4b819c5991fe208aaa96edf142730f1d)"
	.section	".note.GNU-stack","",@progbits
	.addrsig
	.addrsig_sym __hip_cuid_7bdeffd135161c64
	.amdgpu_metadata
---
amdhsa.kernels:
  - .agpr_count:     0
    .args:
      - .actual_access:  read_only
        .address_space:  global
        .offset:         0
        .size:           8
        .value_kind:     global_buffer
      - .actual_access:  read_only
        .address_space:  global
        .offset:         8
        .size:           8
        .value_kind:     global_buffer
      - .actual_access:  read_only
        .address_space:  global
        .offset:         16
        .size:           8
        .value_kind:     global_buffer
      - .actual_access:  read_only
        .address_space:  global
        .offset:         24
        .size:           8
        .value_kind:     global_buffer
      - .actual_access:  read_only
        .address_space:  global
        .offset:         32
        .size:           8
        .value_kind:     global_buffer
      - .actual_access:  read_only
        .address_space:  global
        .offset:         40
        .size:           8
        .value_kind:     global_buffer
      - .actual_access:  read_only
        .address_space:  global
        .offset:         48
        .size:           8
        .value_kind:     global_buffer
      - .actual_access:  read_only
        .address_space:  global
        .offset:         56
        .size:           8
        .value_kind:     global_buffer
      - .offset:         64
        .size:           1
        .value_kind:     by_value
      - .offset:         68
        .size:           4
        .value_kind:     by_value
      - .offset:         72
        .size:           4
        .value_kind:     by_value
      - .offset:         76
        .size:           4
        .value_kind:     by_value
      - .offset:         80
        .size:           4
        .value_kind:     by_value
      - .address_space:  global
        .offset:         88
        .size:           8
        .value_kind:     global_buffer
      - .actual_access:  write_only
        .address_space:  global
        .offset:         96
        .size:           8
        .value_kind:     global_buffer
      - .offset:         104
        .size:           4
        .value_kind:     hidden_block_count_x
      - .offset:         108
        .size:           4
        .value_kind:     hidden_block_count_y
      - .offset:         112
        .size:           4
        .value_kind:     hidden_block_count_z
      - .offset:         116
        .size:           2
        .value_kind:     hidden_group_size_x
      - .offset:         118
        .size:           2
        .value_kind:     hidden_group_size_y
      - .offset:         120
        .size:           2
        .value_kind:     hidden_group_size_z
      - .offset:         122
        .size:           2
        .value_kind:     hidden_remainder_x
      - .offset:         124
        .size:           2
        .value_kind:     hidden_remainder_y
      - .offset:         126
        .size:           2
        .value_kind:     hidden_remainder_z
      - .offset:         144
        .size:           8
        .value_kind:     hidden_global_offset_x
      - .offset:         152
        .size:           8
        .value_kind:     hidden_global_offset_y
      - .offset:         160
        .size:           8
        .value_kind:     hidden_global_offset_z
      - .offset:         168
        .size:           2
        .value_kind:     hidden_grid_dims
    .group_segment_fixed_size: 0
    .kernarg_segment_align: 8
    .kernarg_segment_size: 360
    .language:       OpenCL C
    .language_version:
      - 2
      - 0
    .max_flat_workgroup_size: 1024
    .name:           _Z19selective_scan_basePKfS0_S0_S0_S0_S0_S0_S0_biiiiPfS1_
    .private_segment_fixed_size: 0
    .sgpr_count:     52
    .sgpr_spill_count: 0
    .symbol:         _Z19selective_scan_basePKfS0_S0_S0_S0_S0_S0_S0_biiiiPfS1_.kd
    .uniform_work_group_size: 1
    .uses_dynamic_stack: false
    .vgpr_count:     27
    .vgpr_spill_count: 0
    .wavefront_size: 64
  - .agpr_count:     0
    .args:
      - .offset:         0
        .size:           144
        .value_kind:     by_value
    .group_segment_fixed_size: 0
    .kernarg_segment_align: 8
    .kernarg_segment_size: 144
    .language:       OpenCL C
    .language_version:
      - 2
      - 0
    .max_flat_workgroup_size: 128
    .name:           _Z26selective_scan_vllm_kernelI18SSMFwdKernelTraitsILi128ELi4ELi8ELb1ELb1ELb1EEEv13SSMParamsBase
    .private_segment_fixed_size: 48
    .sgpr_count:     79
    .sgpr_spill_count: 0
    .symbol:         _Z26selective_scan_vllm_kernelI18SSMFwdKernelTraitsILi128ELi4ELi8ELb1ELb1ELb1EEEv13SSMParamsBase.kd
    .uniform_work_group_size: 1
    .uses_dynamic_stack: false
    .vgpr_count:     46
    .vgpr_spill_count: 0
    .wavefront_size: 64
  - .agpr_count:     0
    .args:
      - .offset:         0
        .size:           144
        .value_kind:     by_value
    .group_segment_fixed_size: 0
    .kernarg_segment_align: 8
    .kernarg_segment_size: 144
    .language:       OpenCL C
    .language_version:
      - 2
      - 0
    .max_flat_workgroup_size: 128
    .name:           _Z26selective_scan_vllm_kernelI18SSMFwdKernelTraitsILi128ELi4ELi8ELb1ELb1ELb0EEEv13SSMParamsBase
    .private_segment_fixed_size: 48
    .sgpr_count:     99
    .sgpr_spill_count: 0
    .symbol:         _Z26selective_scan_vllm_kernelI18SSMFwdKernelTraitsILi128ELi4ELi8ELb1ELb1ELb0EEEv13SSMParamsBase.kd
    .uniform_work_group_size: 1
    .uses_dynamic_stack: false
    .vgpr_count:     42
    .vgpr_spill_count: 0
    .wavefront_size: 64
  - .agpr_count:     0
    .args:
      - .offset:         0
        .size:           144
        .value_kind:     by_value
    .group_segment_fixed_size: 0
    .kernarg_segment_align: 8
    .kernarg_segment_size: 144
    .language:       OpenCL C
    .language_version:
      - 2
      - 0
    .max_flat_workgroup_size: 128
    .name:           _Z26selective_scan_vllm_kernelI18SSMFwdKernelTraitsILi128ELi4ELi8ELb1ELb0ELb1EEEv13SSMParamsBase
    .private_segment_fixed_size: 48
    .sgpr_count:     79
    .sgpr_spill_count: 0
    .symbol:         _Z26selective_scan_vllm_kernelI18SSMFwdKernelTraitsILi128ELi4ELi8ELb1ELb0ELb1EEEv13SSMParamsBase.kd
    .uniform_work_group_size: 1
    .uses_dynamic_stack: false
    .vgpr_count:     48
    .vgpr_spill_count: 0
    .wavefront_size: 64
  - .agpr_count:     0
    .args:
      - .offset:         0
        .size:           144
        .value_kind:     by_value
    .group_segment_fixed_size: 0
    .kernarg_segment_align: 8
    .kernarg_segment_size: 144
    .language:       OpenCL C
    .language_version:
      - 2
      - 0
    .max_flat_workgroup_size: 128
    .name:           _Z26selective_scan_vllm_kernelI18SSMFwdKernelTraitsILi128ELi4ELi8ELb1ELb0ELb0EEEv13SSMParamsBase
    .private_segment_fixed_size: 48
    .sgpr_count:     99
    .sgpr_spill_count: 0
    .symbol:         _Z26selective_scan_vllm_kernelI18SSMFwdKernelTraitsILi128ELi4ELi8ELb1ELb0ELb0EEEv13SSMParamsBase.kd
    .uniform_work_group_size: 1
    .uses_dynamic_stack: false
    .vgpr_count:     42
    .vgpr_spill_count: 0
    .wavefront_size: 64
  - .agpr_count:     0
    .args:
      - .offset:         0
        .size:           144
        .value_kind:     by_value
    .group_segment_fixed_size: 0
    .kernarg_segment_align: 8
    .kernarg_segment_size: 144
    .language:       OpenCL C
    .language_version:
      - 2
      - 0
    .max_flat_workgroup_size: 128
    .name:           _Z26selective_scan_vllm_kernelI18SSMFwdKernelTraitsILi128ELi4ELi8ELb0ELb1ELb1EEEv13SSMParamsBase
    .private_segment_fixed_size: 48
    .sgpr_count:     77
    .sgpr_spill_count: 0
    .symbol:         _Z26selective_scan_vllm_kernelI18SSMFwdKernelTraitsILi128ELi4ELi8ELb0ELb1ELb1EEEv13SSMParamsBase.kd
    .uniform_work_group_size: 1
    .uses_dynamic_stack: false
    .vgpr_count:     46
    .vgpr_spill_count: 0
    .wavefront_size: 64
  - .agpr_count:     0
    .args:
      - .offset:         0
        .size:           144
        .value_kind:     by_value
    .group_segment_fixed_size: 0
    .kernarg_segment_align: 8
    .kernarg_segment_size: 144
    .language:       OpenCL C
    .language_version:
      - 2
      - 0
    .max_flat_workgroup_size: 128
    .name:           _Z26selective_scan_vllm_kernelI18SSMFwdKernelTraitsILi128ELi4ELi8ELb0ELb1ELb0EEEv13SSMParamsBase
    .private_segment_fixed_size: 48
    .sgpr_count:     97
    .sgpr_spill_count: 0
    .symbol:         _Z26selective_scan_vllm_kernelI18SSMFwdKernelTraitsILi128ELi4ELi8ELb0ELb1ELb0EEEv13SSMParamsBase.kd
    .uniform_work_group_size: 1
    .uses_dynamic_stack: false
    .vgpr_count:     42
    .vgpr_spill_count: 0
    .wavefront_size: 64
  - .agpr_count:     0
    .args:
      - .offset:         0
        .size:           144
        .value_kind:     by_value
    .group_segment_fixed_size: 0
    .kernarg_segment_align: 8
    .kernarg_segment_size: 144
    .language:       OpenCL C
    .language_version:
      - 2
      - 0
    .max_flat_workgroup_size: 128
    .name:           _Z26selective_scan_vllm_kernelI18SSMFwdKernelTraitsILi128ELi4ELi8ELb0ELb0ELb1EEEv13SSMParamsBase
    .private_segment_fixed_size: 48
    .sgpr_count:     77
    .sgpr_spill_count: 0
    .symbol:         _Z26selective_scan_vllm_kernelI18SSMFwdKernelTraitsILi128ELi4ELi8ELb0ELb0ELb1EEEv13SSMParamsBase.kd
    .uniform_work_group_size: 1
    .uses_dynamic_stack: false
    .vgpr_count:     48
    .vgpr_spill_count: 0
    .wavefront_size: 64
  - .agpr_count:     0
    .args:
      - .offset:         0
        .size:           144
        .value_kind:     by_value
    .group_segment_fixed_size: 0
    .kernarg_segment_align: 8
    .kernarg_segment_size: 144
    .language:       OpenCL C
    .language_version:
      - 2
      - 0
    .max_flat_workgroup_size: 128
    .name:           _Z26selective_scan_vllm_kernelI18SSMFwdKernelTraitsILi128ELi4ELi8ELb0ELb0ELb0EEEv13SSMParamsBase
    .private_segment_fixed_size: 48
    .sgpr_count:     97
    .sgpr_spill_count: 0
    .symbol:         _Z26selective_scan_vllm_kernelI18SSMFwdKernelTraitsILi128ELi4ELi8ELb0ELb0ELb0EEEv13SSMParamsBase.kd
    .uniform_work_group_size: 1
    .uses_dynamic_stack: false
    .vgpr_count:     42
    .vgpr_spill_count: 0
    .wavefront_size: 64
amdhsa.target:   amdgcn-amd-amdhsa--gfx90a
amdhsa.version:
  - 1
  - 2
...

	.end_amdgpu_metadata
